;; amdgpu-corpus repo=ROCm/rocFFT kind=compiled arch=gfx1030 opt=O3
	.text
	.amdgcn_target "amdgcn-amd-amdhsa--gfx1030"
	.amdhsa_code_object_version 6
	.protected	fft_rtc_fwd_len1650_factors_11_2_3_5_5_wgs_110_tpt_110_halfLds_half_op_CI_CI_unitstride_sbrr_dirReg ; -- Begin function fft_rtc_fwd_len1650_factors_11_2_3_5_5_wgs_110_tpt_110_halfLds_half_op_CI_CI_unitstride_sbrr_dirReg
	.globl	fft_rtc_fwd_len1650_factors_11_2_3_5_5_wgs_110_tpt_110_halfLds_half_op_CI_CI_unitstride_sbrr_dirReg
	.p2align	8
	.type	fft_rtc_fwd_len1650_factors_11_2_3_5_5_wgs_110_tpt_110_halfLds_half_op_CI_CI_unitstride_sbrr_dirReg,@function
fft_rtc_fwd_len1650_factors_11_2_3_5_5_wgs_110_tpt_110_halfLds_half_op_CI_CI_unitstride_sbrr_dirReg: ; @fft_rtc_fwd_len1650_factors_11_2_3_5_5_wgs_110_tpt_110_halfLds_half_op_CI_CI_unitstride_sbrr_dirReg
; %bb.0:
	s_clause 0x2
	s_load_dwordx4 s[12:15], s[4:5], 0x0
	s_load_dwordx4 s[8:11], s[4:5], 0x58
	;; [unrolled: 1-line block ×3, first 2 shown]
	v_mul_u32_u24_e32 v1, 0x254, v0
	v_mov_b32_e32 v7, 0
	v_mov_b32_e32 v5, 0
	;; [unrolled: 1-line block ×3, first 2 shown]
	v_add_nc_u32_sdwa v9, s6, v1 dst_sel:DWORD dst_unused:UNUSED_PAD src0_sel:DWORD src1_sel:WORD_1
	v_mov_b32_e32 v10, v7
	s_waitcnt lgkmcnt(0)
	v_cmp_lt_u64_e64 s0, s[14:15], 2
	s_and_b32 vcc_lo, exec_lo, s0
	s_cbranch_vccnz .LBB0_8
; %bb.1:
	s_load_dwordx2 s[0:1], s[4:5], 0x10
	v_mov_b32_e32 v5, 0
	v_mov_b32_e32 v6, 0
	s_add_u32 s2, s18, 8
	s_addc_u32 s3, s19, 0
	v_mov_b32_e32 v1, v5
	s_add_u32 s6, s16, 8
	v_mov_b32_e32 v2, v6
	s_addc_u32 s7, s17, 0
	s_mov_b64 s[22:23], 1
	s_waitcnt lgkmcnt(0)
	s_add_u32 s20, s0, 8
	s_addc_u32 s21, s1, 0
.LBB0_2:                                ; =>This Inner Loop Header: Depth=1
	s_load_dwordx2 s[24:25], s[20:21], 0x0
                                        ; implicit-def: $vgpr3_vgpr4
	s_mov_b32 s0, exec_lo
	s_waitcnt lgkmcnt(0)
	v_or_b32_e32 v8, s25, v10
	v_cmpx_ne_u64_e32 0, v[7:8]
	s_xor_b32 s1, exec_lo, s0
	s_cbranch_execz .LBB0_4
; %bb.3:                                ;   in Loop: Header=BB0_2 Depth=1
	v_cvt_f32_u32_e32 v3, s24
	v_cvt_f32_u32_e32 v4, s25
	s_sub_u32 s0, 0, s24
	s_subb_u32 s26, 0, s25
	v_fmac_f32_e32 v3, 0x4f800000, v4
	v_rcp_f32_e32 v3, v3
	v_mul_f32_e32 v3, 0x5f7ffffc, v3
	v_mul_f32_e32 v4, 0x2f800000, v3
	v_trunc_f32_e32 v4, v4
	v_fmac_f32_e32 v3, 0xcf800000, v4
	v_cvt_u32_f32_e32 v4, v4
	v_cvt_u32_f32_e32 v3, v3
	v_mul_lo_u32 v8, s0, v4
	v_mul_hi_u32 v11, s0, v3
	v_mul_lo_u32 v12, s26, v3
	v_add_nc_u32_e32 v8, v11, v8
	v_mul_lo_u32 v11, s0, v3
	v_add_nc_u32_e32 v8, v8, v12
	v_mul_hi_u32 v12, v3, v11
	v_mul_lo_u32 v13, v3, v8
	v_mul_hi_u32 v14, v3, v8
	v_mul_hi_u32 v15, v4, v11
	v_mul_lo_u32 v11, v4, v11
	v_mul_hi_u32 v16, v4, v8
	v_mul_lo_u32 v8, v4, v8
	v_add_co_u32 v12, vcc_lo, v12, v13
	v_add_co_ci_u32_e32 v13, vcc_lo, 0, v14, vcc_lo
	v_add_co_u32 v11, vcc_lo, v12, v11
	v_add_co_ci_u32_e32 v11, vcc_lo, v13, v15, vcc_lo
	v_add_co_ci_u32_e32 v12, vcc_lo, 0, v16, vcc_lo
	v_add_co_u32 v8, vcc_lo, v11, v8
	v_add_co_ci_u32_e32 v11, vcc_lo, 0, v12, vcc_lo
	v_add_co_u32 v3, vcc_lo, v3, v8
	v_add_co_ci_u32_e32 v4, vcc_lo, v4, v11, vcc_lo
	v_mul_hi_u32 v8, s0, v3
	v_mul_lo_u32 v12, s26, v3
	v_mul_lo_u32 v11, s0, v4
	v_add_nc_u32_e32 v8, v8, v11
	v_mul_lo_u32 v11, s0, v3
	v_add_nc_u32_e32 v8, v8, v12
	v_mul_hi_u32 v12, v3, v11
	v_mul_lo_u32 v13, v3, v8
	v_mul_hi_u32 v14, v3, v8
	v_mul_hi_u32 v15, v4, v11
	v_mul_lo_u32 v11, v4, v11
	v_mul_hi_u32 v16, v4, v8
	v_mul_lo_u32 v8, v4, v8
	v_add_co_u32 v12, vcc_lo, v12, v13
	v_add_co_ci_u32_e32 v13, vcc_lo, 0, v14, vcc_lo
	v_add_co_u32 v11, vcc_lo, v12, v11
	v_add_co_ci_u32_e32 v11, vcc_lo, v13, v15, vcc_lo
	v_add_co_ci_u32_e32 v12, vcc_lo, 0, v16, vcc_lo
	v_add_co_u32 v8, vcc_lo, v11, v8
	v_add_co_ci_u32_e32 v11, vcc_lo, 0, v12, vcc_lo
	v_add_co_u32 v8, vcc_lo, v3, v8
	v_add_co_ci_u32_e32 v13, vcc_lo, v4, v11, vcc_lo
	v_mul_hi_u32 v15, v9, v8
	v_mad_u64_u32 v[11:12], null, v10, v8, 0
	v_mad_u64_u32 v[3:4], null, v9, v13, 0
	;; [unrolled: 1-line block ×3, first 2 shown]
	v_add_co_u32 v3, vcc_lo, v15, v3
	v_add_co_ci_u32_e32 v4, vcc_lo, 0, v4, vcc_lo
	v_add_co_u32 v3, vcc_lo, v3, v11
	v_add_co_ci_u32_e32 v3, vcc_lo, v4, v12, vcc_lo
	v_add_co_ci_u32_e32 v4, vcc_lo, 0, v14, vcc_lo
	v_add_co_u32 v8, vcc_lo, v3, v13
	v_add_co_ci_u32_e32 v11, vcc_lo, 0, v4, vcc_lo
	v_mul_lo_u32 v12, s25, v8
	v_mad_u64_u32 v[3:4], null, s24, v8, 0
	v_mul_lo_u32 v13, s24, v11
	v_sub_co_u32 v3, vcc_lo, v9, v3
	v_add3_u32 v4, v4, v13, v12
	v_sub_nc_u32_e32 v12, v10, v4
	v_subrev_co_ci_u32_e64 v12, s0, s25, v12, vcc_lo
	v_add_co_u32 v13, s0, v8, 2
	v_add_co_ci_u32_e64 v14, s0, 0, v11, s0
	v_sub_co_u32 v15, s0, v3, s24
	v_sub_co_ci_u32_e32 v4, vcc_lo, v10, v4, vcc_lo
	v_subrev_co_ci_u32_e64 v12, s0, 0, v12, s0
	v_cmp_le_u32_e32 vcc_lo, s24, v15
	v_cmp_eq_u32_e64 s0, s25, v4
	v_cndmask_b32_e64 v15, 0, -1, vcc_lo
	v_cmp_le_u32_e32 vcc_lo, s25, v12
	v_cndmask_b32_e64 v16, 0, -1, vcc_lo
	v_cmp_le_u32_e32 vcc_lo, s24, v3
	;; [unrolled: 2-line block ×3, first 2 shown]
	v_cndmask_b32_e64 v17, 0, -1, vcc_lo
	v_cmp_eq_u32_e32 vcc_lo, s25, v12
	v_cndmask_b32_e64 v3, v17, v3, s0
	v_cndmask_b32_e32 v12, v16, v15, vcc_lo
	v_add_co_u32 v15, vcc_lo, v8, 1
	v_add_co_ci_u32_e32 v16, vcc_lo, 0, v11, vcc_lo
	v_cmp_ne_u32_e32 vcc_lo, 0, v12
	v_cndmask_b32_e32 v4, v16, v14, vcc_lo
	v_cndmask_b32_e32 v12, v15, v13, vcc_lo
	v_cmp_ne_u32_e32 vcc_lo, 0, v3
	v_cndmask_b32_e32 v4, v11, v4, vcc_lo
	v_cndmask_b32_e32 v3, v8, v12, vcc_lo
.LBB0_4:                                ;   in Loop: Header=BB0_2 Depth=1
	s_andn2_saveexec_b32 s0, s1
	s_cbranch_execz .LBB0_6
; %bb.5:                                ;   in Loop: Header=BB0_2 Depth=1
	v_cvt_f32_u32_e32 v3, s24
	s_sub_i32 s1, 0, s24
	v_rcp_iflag_f32_e32 v3, v3
	v_mul_f32_e32 v3, 0x4f7ffffe, v3
	v_cvt_u32_f32_e32 v3, v3
	v_mul_lo_u32 v4, s1, v3
	v_mul_hi_u32 v4, v3, v4
	v_add_nc_u32_e32 v3, v3, v4
	v_mul_hi_u32 v3, v9, v3
	v_mul_lo_u32 v4, v3, s24
	v_add_nc_u32_e32 v8, 1, v3
	v_sub_nc_u32_e32 v4, v9, v4
	v_subrev_nc_u32_e32 v11, s24, v4
	v_cmp_le_u32_e32 vcc_lo, s24, v4
	v_cndmask_b32_e32 v4, v4, v11, vcc_lo
	v_cndmask_b32_e32 v3, v3, v8, vcc_lo
	v_cmp_le_u32_e32 vcc_lo, s24, v4
	v_add_nc_u32_e32 v8, 1, v3
	v_mov_b32_e32 v4, v7
	v_cndmask_b32_e32 v3, v3, v8, vcc_lo
.LBB0_6:                                ;   in Loop: Header=BB0_2 Depth=1
	s_or_b32 exec_lo, exec_lo, s0
	v_mul_lo_u32 v8, v4, s24
	v_mul_lo_u32 v13, v3, s25
	s_load_dwordx2 s[0:1], s[6:7], 0x0
	v_mad_u64_u32 v[11:12], null, v3, s24, 0
	s_load_dwordx2 s[24:25], s[2:3], 0x0
	s_add_u32 s22, s22, 1
	s_addc_u32 s23, s23, 0
	s_add_u32 s2, s2, 8
	s_addc_u32 s3, s3, 0
	s_add_u32 s6, s6, 8
	v_add3_u32 v8, v12, v13, v8
	v_sub_co_u32 v9, vcc_lo, v9, v11
	s_addc_u32 s7, s7, 0
	s_add_u32 s20, s20, 8
	v_sub_co_ci_u32_e32 v8, vcc_lo, v10, v8, vcc_lo
	s_addc_u32 s21, s21, 0
	s_waitcnt lgkmcnt(0)
	v_mul_lo_u32 v10, s0, v8
	v_mul_lo_u32 v11, s1, v9
	v_mad_u64_u32 v[5:6], null, s0, v9, v[5:6]
	v_mul_lo_u32 v8, s24, v8
	v_mul_lo_u32 v12, s25, v9
	v_mad_u64_u32 v[1:2], null, s24, v9, v[1:2]
	v_cmp_ge_u64_e64 s0, s[22:23], s[14:15]
	v_add3_u32 v6, v11, v6, v10
	v_add3_u32 v2, v12, v2, v8
	s_and_b32 vcc_lo, exec_lo, s0
	s_cbranch_vccnz .LBB0_9
; %bb.7:                                ;   in Loop: Header=BB0_2 Depth=1
	v_mov_b32_e32 v10, v4
	v_mov_b32_e32 v9, v3
	s_branch .LBB0_2
.LBB0_8:
	v_mov_b32_e32 v1, v5
	v_mov_b32_e32 v3, v9
	;; [unrolled: 1-line block ×4, first 2 shown]
.LBB0_9:
	s_load_dwordx2 s[0:1], s[4:5], 0x28
	v_mul_hi_u32 v9, 0x253c826, v0
	s_lshl_b64 s[4:5], s[14:15], 3
                                        ; implicit-def: $sgpr6
                                        ; implicit-def: $vgpr11
	s_add_u32 s2, s18, s4
	s_addc_u32 s3, s19, s5
	s_waitcnt lgkmcnt(0)
	v_cmp_gt_u64_e32 vcc_lo, s[0:1], v[3:4]
	v_cmp_le_u64_e64 s0, s[0:1], v[3:4]
	s_and_saveexec_b32 s1, s0
	s_xor_b32 s0, exec_lo, s1
; %bb.10:
	v_mul_u32_u24_e32 v5, 0x6e, v9
	s_mov_b32 s6, 0
                                        ; implicit-def: $vgpr9
	v_sub_nc_u32_e32 v11, v0, v5
                                        ; implicit-def: $vgpr0
                                        ; implicit-def: $vgpr5_vgpr6
; %bb.11:
	s_or_saveexec_b32 s1, s0
	s_load_dwordx2 s[2:3], s[2:3], 0x0
	v_mov_b32_e32 v12, s6
	v_mov_b32_e32 v46, s6
                                        ; implicit-def: $vgpr7
                                        ; implicit-def: $vgpr47
                                        ; implicit-def: $vgpr55
                                        ; implicit-def: $vgpr38
                                        ; implicit-def: $vgpr54
                                        ; implicit-def: $vgpr37
                                        ; implicit-def: $vgpr53
                                        ; implicit-def: $vgpr36
                                        ; implicit-def: $vgpr52
                                        ; implicit-def: $vgpr35
                                        ; implicit-def: $vgpr51
                                        ; implicit-def: $vgpr31
                                        ; implicit-def: $vgpr50
                                        ; implicit-def: $vgpr33
                                        ; implicit-def: $vgpr45
                                        ; implicit-def: $vgpr39
                                        ; implicit-def: $vgpr44
                                        ; implicit-def: $vgpr40
                                        ; implicit-def: $vgpr43
                                        ; implicit-def: $vgpr41
                                        ; implicit-def: $vgpr8
                                        ; implicit-def: $vgpr42
                                        ; implicit-def: $vgpr22
                                        ; implicit-def: $vgpr32
                                        ; implicit-def: $vgpr21
                                        ; implicit-def: $vgpr29
                                        ; implicit-def: $vgpr20
                                        ; implicit-def: $vgpr27
                                        ; implicit-def: $vgpr19
                                        ; implicit-def: $vgpr25
                                        ; implicit-def: $vgpr18
                                        ; implicit-def: $vgpr23
                                        ; implicit-def: $vgpr13
                                        ; implicit-def: $vgpr34
                                        ; implicit-def: $vgpr14
                                        ; implicit-def: $vgpr30
                                        ; implicit-def: $vgpr15
                                        ; implicit-def: $vgpr28
                                        ; implicit-def: $vgpr16
                                        ; implicit-def: $vgpr26
                                        ; implicit-def: $vgpr17
                                        ; implicit-def: $vgpr24
	s_xor_b32 exec_lo, exec_lo, s1
	s_cbranch_execz .LBB0_15
; %bb.12:
	s_add_u32 s4, s16, s4
	s_addc_u32 s5, s17, s5
	v_mul_u32_u24_e32 v9, 0x6e, v9
	s_load_dwordx2 s[4:5], s[4:5], 0x0
	v_lshlrev_b64 v[5:6], 2, v[5:6]
	v_mov_b32_e32 v46, 0
	v_mov_b32_e32 v12, 0
                                        ; implicit-def: $vgpr24
                                        ; implicit-def: $vgpr17
                                        ; implicit-def: $vgpr26
                                        ; implicit-def: $vgpr16
                                        ; implicit-def: $vgpr28
                                        ; implicit-def: $vgpr15
                                        ; implicit-def: $vgpr30
                                        ; implicit-def: $vgpr14
                                        ; implicit-def: $vgpr34
                                        ; implicit-def: $vgpr13
                                        ; implicit-def: $vgpr23
                                        ; implicit-def: $vgpr18
                                        ; implicit-def: $vgpr25
                                        ; implicit-def: $vgpr19
                                        ; implicit-def: $vgpr27
                                        ; implicit-def: $vgpr20
                                        ; implicit-def: $vgpr29
                                        ; implicit-def: $vgpr21
                                        ; implicit-def: $vgpr32
                                        ; implicit-def: $vgpr22
	s_waitcnt lgkmcnt(0)
	v_mul_lo_u32 v10, s5, v3
	v_mul_lo_u32 v11, s4, v4
	v_mad_u64_u32 v[7:8], null, s4, v3, 0
	v_add3_u32 v8, v8, v11, v10
	v_sub_nc_u32_e32 v11, v0, v9
	v_lshlrev_b64 v[7:8], 2, v[7:8]
	v_add_co_u32 v0, s0, s8, v7
	v_add_co_ci_u32_e64 v7, s0, s9, v8, s0
	v_lshlrev_b32_e32 v8, 2, v11
	v_add_co_u32 v0, s0, v0, v5
	v_add_co_ci_u32_e64 v6, s0, v7, v6, s0
	v_add_co_u32 v5, s0, v0, v8
	v_add_co_ci_u32_e64 v6, s0, 0, v6, s0
	;; [unrolled: 2-line block ×4, first 2 shown]
	s_clause 0xa
	global_load_dword v47, v[5:6], off
	global_load_dword v38, v[5:6], off offset:600
	global_load_dword v37, v[5:6], off offset:1200
	;; [unrolled: 1-line block ×10, first 2 shown]
	v_cmp_gt_u32_e64 s0, 40, v11
	s_and_saveexec_b32 s4, s0
	s_cbranch_execz .LBB0_14
; %bb.13:
	v_add_co_u32 v12, s0, 0x1800, v5
	v_add_co_ci_u32_e64 v13, s0, 0, v6, s0
	s_clause 0xa
	global_load_dword v46, v[5:6], off offset:440
	global_load_dword v32, v[5:6], off offset:1040
	;; [unrolled: 1-line block ×11, first 2 shown]
	s_waitcnt vmcnt(10)
	v_lshrrev_b32_e32 v12, 16, v46
	s_waitcnt vmcnt(9)
	v_lshrrev_b32_e32 v22, 16, v32
	;; [unrolled: 2-line block ×11, first 2 shown]
.LBB0_14:
	s_or_b32 exec_lo, exec_lo, s4
	s_waitcnt vmcnt(10)
	v_lshrrev_b32_e32 v7, 16, v47
	s_waitcnt vmcnt(9)
	v_lshrrev_b32_e32 v55, 16, v38
	;; [unrolled: 2-line block ×11, first 2 shown]
.LBB0_15:
	s_or_b32 exec_lo, exec_lo, s1
	v_sub_f16_e32 v0, v55, v8
	v_add_f16_e32 v5, v38, v42
	v_sub_f16_e32 v10, v54, v43
	v_add_f16_e32 v9, v37, v41
	v_sub_f16_e32 v57, v53, v44
	v_mul_f16_e32 v6, 0xb482, v0
	v_pk_mul_f16 v48, 0xbb47b853, v0 op_sel_hi:[1,0]
	v_mul_f16_e32 v49, 0x3853, v10
	v_pk_mul_f16 v59, 0xba0cbb47, v10 op_sel_hi:[1,0]
	v_add_f16_e32 v61, v36, v40
	v_fma_f16 v58, v5, 0xbbad, -v6
	v_pk_fma_f16 v60, 0x36a63abb, v5, v48 op_sel_hi:[1,0,1] neg_lo:[0,0,1] neg_hi:[0,0,1]
	v_pk_mul_f16 v62, 0x3482bbeb, v57 op_sel_hi:[1,0]
	v_fma_f16 v63, v9, 0x3abb, -v49
	v_pk_fma_f16 v64, 0xb93d36a6, v9, v59 op_sel_hi:[1,0,1] neg_lo:[0,0,1] neg_hi:[0,0,1]
	v_add_f16_e32 v58, v58, v47
	v_pk_add_f16 v60, v60, v47 op_sel_hi:[1,0]
	v_mul_f16_e32 v56, 0xba0c, v57
	v_sub_f16_e32 v65, v52, v45
	v_add_f16_e32 v69, v35, v39
	v_add_f16_e32 v58, v63, v58
	v_pk_fma_f16 v63, 0xbbadb08e, v61, v62 op_sel_hi:[1,0,1] neg_lo:[0,0,1] neg_hi:[0,0,1]
	v_pk_add_f16 v60, v64, v60
	v_fma_f16 v66, v61, 0xb93d, -v56
	v_mul_f16_e32 v64, 0x3b47, v65
	v_sub_f16_e32 v70, v51, v50
	v_add_f16_e32 v71, v31, v33
	v_pk_add_f16 v60, v63, v60
	v_pk_mul_f16 v63, 0xba0cbbeb, v0 op_sel_hi:[1,0]
	v_add_f16_e32 v58, v66, v58
	v_fma_f16 v66, v69, 0x36a6, -v64
	v_mul_f16_e32 v67, 0xbbeb, v70
	v_pk_mul_f16 v73, 0x3beb3482, v10 op_sel_hi:[1,0]
	v_pk_fma_f16 v68, 0xb93db08e, v5, v63 op_sel_hi:[1,0,1] neg_lo:[0,0,1] neg_hi:[0,0,1]
	v_pk_mul_f16 v72, 0x3bebba0c, v65 op_sel_hi:[1,0]
	v_add_f16_e32 v58, v66, v58
	v_fma_f16 v66, v71, 0xb08e, -v67
	v_pk_fma_f16 v75, 0xb08ebbad, v9, v73 op_sel_hi:[1,0,1] neg_lo:[0,0,1] neg_hi:[0,0,1]
	v_pk_add_f16 v68, v68, v47 op_sel_hi:[1,0]
	v_pk_fma_f16 v74, 0xb08eb93d, v69, v72 op_sel_hi:[1,0,1] neg_lo:[0,0,1] neg_hi:[0,0,1]
	v_mul_f16_e32 v76, 0x3abb, v9
	v_add_f16_e32 v58, v66, v58
	v_pk_mul_f16 v77, 0xb08ebbad, v9 op_sel_hi:[1,0]
	v_pk_add_f16 v66, v75, v68
	v_mul_f16_e32 v68, 0xbbad, v5
	v_pk_mul_f16 v75, 0xb93db08e, v5 op_sel_hi:[1,0]
	v_bfi_b32 v6, 0xffff, v6, v63
	v_pk_add_f16 v60, v74, v60
	v_pk_mul_f16 v74, 0xb8533b47, v57 op_sel_hi:[1,0]
	v_bfi_b32 v49, 0xffff, v49, v73
	v_bfi_b32 v68, 0xffff, v68, v75
	v_add_f16_e32 v75, v47, v38
	v_bfi_b32 v73, 0xffff, v76, v77
	v_pk_fma_f16 v63, 0x3abb36a6, v61, v74 op_sel_hi:[1,0,1] neg_lo:[0,0,1] neg_hi:[0,0,1]
	v_pk_mul_f16 v76, 0x3abb36a6, v61 op_sel_hi:[1,0]
	v_pk_add_f16 v6, v6, v68
	v_add_f16_e32 v68, v75, v37
	v_pk_add_f16 v49, v49, v73
	v_pk_add_f16 v63, v63, v66
	v_mul_f16_e32 v66, 0xb93d, v61
	v_pk_add_f16 v6, v6, v47 op_sel_hi:[1,0]
	v_add_f16_e32 v68, v68, v36
	v_bfi_b32 v56, 0xffff, v56, v74
	v_pk_mul_f16 v73, 0xb482b853, v65 op_sel_hi:[1,0]
	v_bfi_b32 v66, 0xffff, v66, v76
	v_pk_add_f16 v6, v49, v6
	v_add_f16_e32 v49, v68, v35
	v_mul_f16_e32 v74, 0x36a6, v69
	v_pk_mul_f16 v75, 0xbbad3abb, v69 op_sel_hi:[1,0]
	v_pk_fma_f16 v68, 0xbbad3abb, v69, v73 op_sel_hi:[1,0,1] neg_lo:[0,0,1] neg_hi:[0,0,1]
	v_pk_add_f16 v56, v56, v66
	v_add_f16_e32 v49, v49, v31
	v_bfi_b32 v64, 0xffff, v64, v73
	v_bfi_b32 v66, 0xffff, v74, v75
	v_pk_add_f16 v63, v68, v63
	v_mul_f16_e32 v68, 0xb08e, v71
	v_add_f16_e32 v49, v49, v33
	v_pk_mul_f16 v73, 0x36a6b93d, v71 op_sel_hi:[1,0]
	v_pk_add_f16 v6, v56, v6
	v_pk_mul_f16 v56, 0x3b47ba0c, v70 op_sel_hi:[1,0]
	v_pk_add_f16 v64, v64, v66
	v_add_f16_e32 v49, v49, v39
	v_bfi_b32 v66, 0xffff, v68, v73
	v_pk_mul_f16 v73, 0x3853b482, v70 op_sel_hi:[1,0]
	v_bfi_b32 v67, 0xffff, v67, v56
	v_pk_fma_f16 v56, 0x36a6b93d, v71, v56 op_sel_hi:[1,0,1] neg_lo:[0,0,1] neg_hi:[0,0,1]
	v_add_f16_e32 v49, v49, v40
	v_pk_add_f16 v6, v64, v6
	v_pk_fma_f16 v64, 0x3abbbbad, v71, v73 op_sel_hi:[1,0,1] neg_lo:[0,0,1] neg_hi:[0,0,1]
	v_pk_add_f16 v66, v67, v66
	v_pk_add_f16 v56, v56, v63
	v_add_f16_e32 v49, v49, v41
	v_pk_mul_f16 v75, 0xbbad36a6, v61 op_sel_hi:[1,0]
	v_pk_add_f16 v63, v64, v60
	v_pk_add_f16 v68, v66, v6
	v_pk_mul_f16 v6, 0x36a6b08e, v5 op_sel_hi:[1,0]
	v_add_f16_e32 v74, v49, v42
	v_sub_f16_e32 v49, v22, v13
	v_alignbit_b32 v67, v58, v56, 16
	v_alignbit_b32 v66, v56, v63, 16
	v_fmamk_f16 v5, v5, 0x3abb, v48
	v_pk_fma_f16 v0, 0xbb47bbeb, v0, v6 op_sel_hi:[1,0,1]
	v_pk_mul_f16 v56, 0xb93dbbad, v9 op_sel_hi:[1,0]
	v_add_f16_e32 v48, v32, v34
	v_pk_mul_f16 v6, 0xba0cbbeb, v49 op_sel_hi:[1,0]
	v_sub_f16_e32 v58, v21, v14
	v_add_f16_e32 v5, v5, v47
	v_pk_add_f16 v0, v0, v47 op_sel_hi:[1,0]
	v_pk_fma_f16 v10, 0xba0c3482, v10, v56 op_sel_hi:[1,0,1]
	v_pk_fma_f16 v64, 0xb93db08e, v48, v6 op_sel_hi:[1,0,1] neg_lo:[0,0,1] neg_hi:[0,0,1]
	v_add_f16_e32 v56, v29, v30
	v_pk_mul_f16 v47, 0x3beb3482, v58 op_sel_hi:[1,0]
	v_sub_f16_e32 v60, v20, v15
	v_fmamk_f16 v9, v9, 0x36a6, v59
	v_pk_add_f16 v64, v46, v64 op_sel_hi:[0,1]
	v_pk_add_f16 v10, v10, v0
	v_pk_fma_f16 v76, 0xb08ebbad, v56, v47 op_sel_hi:[1,0,1] neg_lo:[0,0,1] neg_hi:[0,0,1]
	v_add_f16_e32 v59, v27, v28
	v_pk_mul_f16 v0, 0xb8533b47, v60 op_sel_hi:[1,0]
	v_pk_fma_f16 v57, 0x34823b47, v57, v75 op_sel_hi:[1,0,1]
	v_fmamk_f16 v61, v61, 0xb08e, v62
	v_pk_add_f16 v64, v64, v76
	v_sub_f16_e32 v62, v19, v16
	v_pk_fma_f16 v75, 0x3abb36a6, v59, v0 op_sel_hi:[1,0,1] neg_lo:[0,0,1] neg_hi:[0,0,1]
	v_add_f16_e32 v5, v9, v5
	v_pk_mul_f16 v9, 0xb08e3abb, v69 op_sel_hi:[1,0]
	v_pk_add_f16 v76, v57, v10
	v_add_f16_e32 v57, v25, v26
	v_pk_add_f16 v75, v64, v75
	v_pk_mul_f16 v10, 0xb482b853, v62 op_sel_hi:[1,0]
	v_sub_f16_e32 v64, v18, v17
	v_pk_fma_f16 v65, 0x3bebb853, v65, v9 op_sel_hi:[1,0,1]
	v_add_f16_e32 v5, v61, v5
	v_fmamk_f16 v69, v69, 0xb93d, v72
	v_pk_mul_f16 v72, 0x3abbb93d, v71 op_sel_hi:[1,0]
	v_pk_fma_f16 v77, 0xbbad3abb, v57, v10 op_sel_hi:[1,0,1] neg_lo:[0,0,1] neg_hi:[0,0,1]
	v_add_f16_e32 v61, v23, v24
	v_pk_mul_f16 v9, 0x3b47ba0c, v64 op_sel_hi:[1,0]
	v_add_f16_e32 v69, v69, v5
	v_pk_fma_f16 v70, 0x3853ba0c, v70, v72 op_sel_hi:[1,0,1]
	v_pk_add_f16 v72, v75, v77
	v_pk_add_f16 v76, v65, v76
	v_pk_fma_f16 v5, 0x36a6b93d, v61, v9 op_sel_hi:[1,0,1] neg_lo:[0,0,1] neg_hi:[0,0,1]
	v_fmamk_f16 v71, v71, 0xbbad, v73
	v_pack_b32_f16 v65, v74, v63
	v_mad_u32_u24 v63, v11, 22, 0
	v_cmp_gt_u32_e64 s1, 40, v11
	v_pk_add_f16 v5, v72, v5
	v_pk_add_f16 v70, v70, v76
	v_add_f16_e32 v69, v71, v69
	ds_write_b128 v63, v[65:68]
	ds_write_b32 v63, v70 offset:16
	ds_write_b16 v63, v69 offset:20
	s_and_saveexec_b32 s0, s1
	s_cbranch_execz .LBB0_17
; %bb.16:
	v_pack_b32_f16 v68, v49, v49
	v_mul_f16_e32 v49, 0xb482, v49
	v_pack_b32_f16 v72, v58, v58
	v_mul_f16_e32 v58, 0x3853, v58
	;; [unrolled: 2-line block ×3, first 2 shown]
	v_fma_f16 v82, v48, 0xbbad, -v49
	v_pack_b32_f16 v78, v62, v62
	v_fma_f16 v83, v56, 0x3abb, -v58
	v_mul_f16_e32 v62, 0x3b47, v62
	v_fma_f16 v84, v59, 0xb93d, -v60
	v_add_f16_e32 v82, v46, v82
	v_add_f16_e32 v65, v46, v32
	v_pack_b32_f16 v66, v48, v48
	v_pack_b32_f16 v81, v64, v64
	v_mul_f16_e32 v64, 0xbbeb, v64
	v_add_f16_e32 v82, v82, v83
	v_fma_f16 v83, v57, 0x36a6, -v62
	v_add_f16_e32 v65, v65, v29
	v_pk_mul_f16 v67, 0xb93db08e, v48 op_sel_hi:[1,0]
	v_pack_b32_f16 v70, v56, v56
	v_add_f16_e32 v82, v82, v84
	v_pk_mul_f16 v84, 0xbb47b853, v68
	v_mul_f16_e32 v48, 0xbbad, v48
	v_fma_f16 v85, v61, 0xb08e, -v64
	v_pk_mul_f16 v86, 0xba0cbb47, v72
	v_add_f16_e32 v82, v82, v83
	v_fmamk_f16 v83, v66, 0x3abb, v84
	v_add_f16_e32 v65, v65, v27
	v_perm_b32 v69, v46, v46, 0x5040100
	v_pk_mul_f16 v71, 0xb08ebbad, v56 op_sel_hi:[1,0]
	v_pack_b32_f16 v73, v59, v59
	v_mul_f16_e32 v56, 0x3abb, v56
	v_add_f16_e32 v82, v82, v85
	v_add_f16_e32 v46, v46, v83
	v_fmamk_f16 v83, v70, 0x36a6, v86
	v_pk_mul_f16 v85, 0x3482bbeb, v75
	v_pk_fma_f16 v84, 0x36a63abb, v66, v84 neg_lo:[0,0,1] neg_hi:[0,0,1]
	v_bfi_b32 v6, 0xffff, v49, v6
	v_bfi_b32 v48, 0xffff, v48, v67
	v_add_f16_e32 v65, v65, v25
	v_pack_b32_f16 v76, v57, v57
	v_pk_mul_f16 v87, 0x3bebba0c, v78
	v_add_f16_e32 v46, v46, v83
	v_fmamk_f16 v83, v73, 0xb08e, v85
	v_pk_add_f16 v84, v69, v84
	v_pk_fma_f16 v86, 0xb93d36a6, v70, v86 neg_lo:[0,0,1] neg_hi:[0,0,1]
	v_pk_add_f16 v6, v6, v48
	v_bfi_b32 v47, 0xffff, v58, v47
	v_bfi_b32 v48, 0xffff, v56, v71
	v_add_f16_e32 v65, v65, v23
	v_pk_mul_f16 v74, 0x3abb36a6, v59 op_sel_hi:[1,0]
	v_mul_f16_e32 v59, 0xb93d, v59
	v_add_f16_e32 v46, v46, v83
	v_fmamk_f16 v49, v76, 0xb93d, v87
	v_pk_add_f16 v67, v84, v86
	v_pk_fma_f16 v83, 0xbbadb08e, v73, v85 neg_lo:[0,0,1] neg_hi:[0,0,1]
	v_pk_add_f16 v6, v69, v6
	v_pk_add_f16 v47, v47, v48
	v_pk_mul_f16 v48, 0x36a6b08e, v66
	v_add_f16_e32 v65, v65, v24
	v_pk_mul_f16 v77, 0xbbad3abb, v57 op_sel_hi:[1,0]
	v_mul_f16_e32 v57, 0x36a6, v57
	v_add_f16_e32 v56, v46, v49
	v_pk_add_f16 v46, v67, v83
	v_pk_fma_f16 v49, 0xb08eb93d, v76, v87 neg_lo:[0,0,1] neg_hi:[0,0,1]
	v_bfi_b32 v0, 0xffff, v60, v0
	v_bfi_b32 v58, 0xffff, v59, v74
	v_pk_add_f16 v6, v6, v47
	v_pk_fma_f16 v47, 0xbb47bbeb, v68, v48
	v_pk_mul_f16 v48, 0xb93dbbad, v70
	v_add_f16_e32 v65, v26, v65
	v_pk_add_f16 v46, v46, v49
	v_pk_add_f16 v0, v0, v58
	v_bfi_b32 v10, 0xffff, v62, v10
	v_bfi_b32 v49, 0xffff, v57, v77
	v_pk_add_f16 v47, v69, v47
	v_pk_fma_f16 v48, 0xba0c3482, v72, v48
	v_pk_mul_f16 v57, 0xbbad36a6, v73
	v_pack_b32_f16 v79, v61, v61
	v_pk_mul_f16 v80, 0x36a6b93d, v61 op_sel_hi:[1,0]
	v_add_f16_e32 v65, v28, v65
	v_mul_f16_e32 v61, 0xb08e, v61
	v_pk_mul_f16 v88, 0x3853b482, v81
	v_pk_add_f16 v0, v6, v0
	v_pk_add_f16 v6, v10, v49
	;; [unrolled: 1-line block ×3, first 2 shown]
	v_pk_fma_f16 v47, 0x34823b47, v75, v57
	v_pk_mul_f16 v48, 0xb08e3abb, v76
	v_add_f16_e32 v65, v30, v65
	v_pk_fma_f16 v58, 0x3abbbbad, v79, v88 neg_lo:[0,0,1] neg_hi:[0,0,1]
	v_bfi_b32 v9, 0xffff, v64, v9
	v_bfi_b32 v49, 0xffff, v61, v80
	v_pk_add_f16 v0, v0, v6
	v_pk_add_f16 v6, v10, v47
	v_pk_fma_f16 v10, 0x3bebb853, v78, v48
	v_pk_mul_f16 v47, 0x3abbb93d, v79
	v_add_f16_e32 v65, v34, v65
	v_pk_add_f16 v9, v9, v49
	v_pk_add_f16 v46, v46, v58
	;; [unrolled: 1-line block ×3, first 2 shown]
	v_pk_fma_f16 v10, 0x3853ba0c, v81, v47
	v_fmamk_f16 v57, v79, 0xbbad, v88
	v_pk_add_f16 v49, v0, v9
	v_alignbit_b32 v48, v82, v5, 16
	v_alignbit_b32 v47, v5, v46, 16
	v_pack_b32_f16 v46, v65, v46
	v_pk_add_f16 v0, v6, v10
	v_add_f16_e32 v6, v56, v57
	ds_write_b128 v63, v[46:49] offset:2420
	ds_write_b32 v63, v0 offset:2436
	ds_write_b16 v63, v6 offset:2440
.LBB0_17:
	s_or_b32 exec_lo, exec_lo, s0
	v_mad_i32_i24 v0, 0xffffffec, v11, v63
	s_waitcnt lgkmcnt(0)
	s_barrier
	buffer_gl0_inv
	v_cmp_gt_u32_e64 s0, 55, v11
	ds_read_u16 v56, v0
	ds_read_u16 v57, v0 offset:220
	ds_read_u16 v58, v0 offset:440
	;; [unrolled: 1-line block ×13, first 2 shown]
	s_and_saveexec_b32 s4, s0
	s_cbranch_execz .LBB0_19
; %bb.18:
	ds_read_u16 v5, v0 offset:1540
	s_waitcnt lgkmcnt(0)
	ds_read_u16_d16_hi v5, v0 offset:3190
.LBB0_19:
	s_or_b32 exec_lo, exec_lo, s4
	v_add_f16_e32 v64, v7, v55
	v_sub_f16_e32 v37, v37, v41
	v_sub_f16_e32 v35, v35, v39
	;; [unrolled: 1-line block ×3, first 2 shown]
	v_add_f16_e32 v55, v55, v8
	v_add_f16_e32 v41, v64, v54
	;; [unrolled: 1-line block ×3, first 2 shown]
	v_sub_f16_e32 v36, v36, v40
	v_mul_f16_e32 v64, 0xb482, v38
	v_add_f16_e32 v40, v52, v45
	v_add_f16_e32 v39, v41, v53
	v_pk_mul_f16 v69, 0xbb47b853, v38 op_sel_hi:[1,0]
	v_add_f16_e32 v54, v53, v44
	v_fmamk_f16 v71, v55, 0xbbad, v64
	v_mul_f16_e32 v67, 0xba0c, v36
	v_add_f16_e32 v39, v39, v52
	v_mul_f16_e32 v52, 0x3853, v37
	v_pk_mul_f16 v70, 0xba0cbb47, v37 op_sel_hi:[1,0]
	v_add_f16_e32 v71, v71, v7
	v_fma_f16 v74, v55, 0x3abb, -v69
	v_add_f16_e32 v39, v39, v51
	v_fmamk_f16 v72, v42, 0x3abb, v52
	v_add_f16_e32 v41, v51, v50
	v_mul_f16_e32 v51, 0x3b47, v35
	v_fmamk_f16 v73, v54, 0xb93d, v67
	v_add_f16_e32 v39, v39, v50
	v_pk_mul_f16 v50, 0x3482bbeb, v36 op_sel_hi:[1,0]
	v_pk_fma_f16 v69, 0x36a63abb, v55, v69 op_sel_hi:[1,0,1]
	v_add_f16_e32 v71, v72, v71
	v_add_f16_e32 v72, v74, v7
	;; [unrolled: 1-line block ×3, first 2 shown]
	v_fmamk_f16 v45, v40, 0x36a6, v51
	v_sub_f16_e32 v31, v31, v33
	v_add_f16_e32 v71, v73, v71
	v_pk_mul_f16 v73, 0xb8533b47, v36 op_sel_hi:[1,0]
	v_add_f16_e32 v39, v39, v44
	v_fma_f16 v44, v42, 0x36a6, -v70
	v_pk_fma_f16 v70, 0xb93d36a6, v42, v70 op_sel_hi:[1,0,1]
	v_add_f16_e32 v45, v45, v71
	v_mul_f16_e32 v53, 0xbbad, v55
	v_add_f16_e32 v39, v39, v43
	v_pk_add_f16 v43, v69, v7 op_sel_hi:[1,0]
	v_fma_f16 v69, v54, 0xb08e, -v50
	v_add_f16_e32 v44, v44, v72
	v_pk_mul_f16 v72, 0x3beb3482, v37 op_sel_hi:[1,0]
	v_add_f16_e32 v71, v39, v8
	v_pk_add_f16 v8, v70, v43
	v_pk_fma_f16 v39, 0xbbadb08e, v54, v50 op_sel_hi:[1,0,1]
	v_pk_mul_f16 v43, 0x3bebba0c, v35 op_sel_hi:[1,0]
	v_add_f16_e32 v33, v69, v44
	v_pk_mul_f16 v44, 0xba0cbbeb, v38 op_sel_hi:[1,0]
	v_pk_mul_f16 v50, 0x3abbbbad, v41 op_sel_hi:[1,0]
	v_pk_add_f16 v8, v39, v8
	v_fma_f16 v39, v40, 0xb93d, -v43
	v_pk_mul_f16 v69, 0x3853b482, v31 op_sel_hi:[1,0]
	v_pk_fma_f16 v70, 0xb93db08e, v55, v44 op_sel_hi:[1,0,1]
	v_pk_mul_f16 v38, 0x3b473beb, v38 op_sel_hi:[1,0]
	v_pk_mul_f16 v37, 0x3a0cb482, v37 op_sel_hi:[1,0]
	v_add_f16_e32 v33, v39, v33
	v_pk_fma_f16 v39, 0xb08eb93d, v40, v43 op_sel_hi:[1,0,1]
	v_sub_f16_e32 v43, v50, v69
	v_pk_add_f16 v50, v70, v7 op_sel_hi:[1,0]
	v_pk_fma_f16 v70, 0xb08ebbad, v42, v72 op_sel_hi:[1,0,1]
	v_pk_fma_f16 v38, 0x36a6b08e, v55, v38 op_sel_hi:[1,0,1]
	v_pk_add_f16 v39, v39, v8
	v_add_f16_e32 v43, v43, v33
	v_pk_fma_f16 v33, 0x3abb36a6, v54, v73 op_sel_hi:[1,0,1]
	v_pk_add_f16 v8, v70, v50
	v_pk_mul_f16 v50, 0xb482b853, v35 op_sel_hi:[1,0]
	v_pk_mul_f16 v70, 0xb93db08e, v55 op_sel_hi:[1,0]
	v_pk_fma_f16 v37, 0xb93dbbad, v42, v37 op_sel_hi:[1,0,1]
	v_pk_mul_f16 v36, 0xb482bb47, v36 op_sel_hi:[1,0]
	v_pk_add_f16 v8, v33, v8
	v_pk_fma_f16 v33, 0xbbad3abb, v40, v50 op_sel_hi:[1,0,1]
	v_mul_f16_e32 v65, 0x3abb, v42
	v_pk_mul_f16 v74, 0xb08ebbad, v42 op_sel_hi:[1,0]
	v_bfi_b32 v42, 0xffff, v64, v44
	v_pk_fma_f16 v36, 0xbbad36a6, v54, v36 op_sel_hi:[1,0,1]
	v_pk_add_f16 v8, v33, v8
	v_pk_add_f16 v33, v38, v7 op_sel_hi:[1,0]
	v_bfi_b32 v38, 0xffff, v53, v70
	v_pk_mul_f16 v35, 0xbbeb3853, v35 op_sel_hi:[1,0]
	v_mul_f16_e32 v66, 0xb93d, v54
	v_pk_mul_f16 v75, 0x3abb36a6, v54 op_sel_hi:[1,0]
	v_pk_add_f16 v33, v37, v33
	v_pk_add_f16 v37, v38, v42 neg_lo:[0,1] neg_hi:[0,1]
	v_bfi_b32 v38, 0xffff, v65, v74
	v_bfi_b32 v42, 0xffff, v52, v72
	v_pk_fma_f16 v35, 0xb08e3abb, v40, v35 op_sel_hi:[1,0,1]
	v_pk_add_f16 v33, v36, v33
	v_mul_f16_e32 v68, 0x36a6, v40
	v_pk_mul_f16 v55, 0xbbad3abb, v40 op_sel_hi:[1,0]
	v_pk_mul_f16 v44, 0x3b47ba0c, v31 op_sel_hi:[1,0]
	v_pk_mul_f16 v36, 0xb8533a0c, v31 op_sel_hi:[1,0]
	v_pk_add_f16 v7, v37, v7 op_sel_hi:[1,0]
	v_pk_add_f16 v37, v38, v42 neg_lo:[0,1] neg_hi:[0,1]
	v_bfi_b32 v38, 0xffff, v66, v75
	v_bfi_b32 v40, 0xffff, v67, v73
	v_pk_add_f16 v52, v35, v33
	v_sub_f16_e32 v33, v32, v34
	v_pk_fma_f16 v42, 0x36a6b93d, v41, v44 op_sel_hi:[1,0,1]
	v_pk_fma_f16 v53, 0x3abbb93d, v41, v36 op_sel_hi:[1,0,1]
	v_pk_add_f16 v7, v37, v7
	v_pk_add_f16 v35, v38, v40 neg_lo:[0,1] neg_hi:[0,1]
	v_mul_f16_e32 v40, 0xbbeb, v31
	v_add_f16_e32 v32, v22, v13
	v_pk_mul_f16 v31, 0xba0cbbeb, v33 op_sel_hi:[1,0]
	v_sub_f16_e32 v36, v29, v30
	v_pk_add_f16 v38, v42, v8
	v_pk_add_f16 v7, v35, v7
	v_bfi_b32 v30, 0xffff, v68, v55
	v_bfi_b32 v35, 0xffff, v51, v50
	v_add_f16_e32 v34, v21, v14
	v_pk_fma_f16 v42, 0xb93db08e, v32, v31 op_sel_hi:[1,0,1]
	v_pk_mul_f16 v29, 0x3beb3482, v36 op_sel_hi:[1,0]
	v_sub_f16_e32 v37, v27, v28
	v_pk_add_f16 v50, v30, v35 neg_lo:[0,1] neg_hi:[0,1]
	v_add_f16_e32 v35, v20, v15
	v_pk_add_f16 v42, v12, v42 op_sel_hi:[0,1]
	v_pk_fma_f16 v51, 0xb08ebbad, v34, v29 op_sel_hi:[1,0,1]
	v_pk_mul_f16 v27, 0xb8533b47, v37 op_sel_hi:[1,0]
	v_sub_f16_e32 v30, v25, v26
	v_pk_mul_f16 v76, 0x36a6b93d, v41 op_sel_hi:[1,0]
	v_mul_f16_e32 v8, 0xb08e, v41
	v_add_f16_e32 v28, v19, v16
	v_pk_add_f16 v25, v42, v51
	v_pk_fma_f16 v42, 0x3abb36a6, v35, v27 op_sel_hi:[1,0,1]
	v_pk_mul_f16 v26, 0xb482b853, v30 op_sel_hi:[1,0]
	v_sub_f16_e32 v24, v23, v24
	v_pk_fma_f16 v69, 0x3abbbbad, v41, v69 op_sel_hi:[1,0,1]
	v_bfi_b32 v54, 0xffff, v8, v76
	v_bfi_b32 v23, 0xffff, v40, v44
	v_add_f16_e32 v8, v18, v17
	v_pk_add_f16 v42, v25, v42
	v_pk_fma_f16 v44, 0xbbad3abb, v28, v26 op_sel_hi:[1,0,1]
	v_pk_mul_f16 v25, 0x3b47ba0c, v24 op_sel_hi:[1,0]
	v_fmamk_f16 v40, v41, 0xb08e, v40
	v_pk_add_f16 v7, v50, v7
	v_pk_add_f16 v23, v54, v23 neg_lo:[0,1] neg_hi:[0,1]
	v_pk_add_f16 v42, v42, v44
	v_pk_fma_f16 v44, 0x36a6b93d, v8, v25 op_sel_hi:[1,0,1]
	v_add_f16_e32 v40, v40, v45
	v_pk_add_f16 v45, v69, v39
	v_pk_add_f16 v41, v23, v7
	v_add_nc_u32_e32 v7, 0x6e, v11
	v_pk_add_f16 v23, v42, v44
	v_alignbit_b32 v40, v40, v38, 16
	v_alignbit_b32 v39, v38, v45, 16
	v_pack_b32_f16 v38, v71, v45
	v_pk_add_f16 v50, v53, v52
	s_waitcnt lgkmcnt(0)
	s_barrier
	buffer_gl0_inv
	ds_write_b128 v63, v[38:41]
	ds_write_b32 v63, v50 offset:16
	ds_write_b16 v63, v43 offset:20
	s_and_saveexec_b32 s4, s1
	s_cbranch_execz .LBB0_21
; %bb.20:
	v_add_f16_e32 v22, v12, v22
	v_pack_b32_f16 v39, v33, v33
	v_mul_f16_e32 v33, 0xb482, v33
	v_pack_b32_f16 v38, v32, v32
	v_pack_b32_f16 v42, v35, v35
	v_add_f16_e32 v21, v22, v21
	v_pack_b32_f16 v22, v36, v36
	v_pack_b32_f16 v43, v37, v37
	v_pk_mul_f16 v51, 0xb93db08e, v32 op_sel_hi:[1,0]
	v_pk_mul_f16 v52, 0x3abb36a6, v35 op_sel_hi:[1,0]
	v_add_f16_e32 v20, v21, v20
	v_perm_b32 v40, v12, v12, 0x5040100
	v_pack_b32_f16 v41, v34, v34
	v_mul_f16_e32 v36, 0x3853, v36
	v_pk_mul_f16 v63, 0xba0cbb47, v22
	v_add_f16_e32 v19, v20, v19
	v_pack_b32_f16 v21, v30, v30
	v_pk_mul_f16 v20, 0xb08ebbad, v34 op_sel_hi:[1,0]
	v_mul_f16_e32 v55, 0x3abb, v34
	v_fmamk_f16 v34, v34, 0x3abb, v36
	v_add_f16_e32 v18, v19, v18
	v_mul_f16_e32 v19, 0xbbad, v32
	v_fmamk_f16 v32, v32, 0xbbad, v33
	v_pk_mul_f16 v64, 0x3482bbeb, v43
	v_fma_f16 v65, v41, 0x36a6, -v63
	v_add_f16_e32 v17, v18, v17
	v_mul_f16_e32 v18, 0xba0c, v37
	v_mul_f16_e32 v37, 0xb93d, v35
	v_pack_b32_f16 v44, v28, v28
	v_bfi_b32 v19, 0xffff, v19, v51
	v_add_f16_e32 v16, v16, v17
	v_fmamk_f16 v17, v35, 0xb93d, v18
	v_pk_mul_f16 v35, 0xbb47b853, v39
	v_bfi_b32 v20, 0xffff, v55, v20
	v_pack_b32_f16 v50, v24, v24
	v_add_f16_e32 v15, v15, v16
	v_add_f16_e32 v16, v12, v32
	v_fma_f16 v32, v38, 0x3abb, -v35
	v_pk_fma_f16 v35, 0x36a63abb, v38, v35
	v_pk_mul_f16 v53, 0xbbad3abb, v28 op_sel_hi:[1,0]
	v_add_f16_e32 v14, v14, v15
	v_pk_fma_f16 v15, 0xb93d36a6, v41, v63
	v_add_f16_e32 v12, v12, v32
	v_pk_add_f16 v32, v40, v35
	v_add_f16_e32 v16, v16, v34
	v_add_f16_e32 v34, v13, v14
	v_mul_f16_e32 v13, 0x3b47, v30
	v_add_f16_e32 v12, v12, v65
	v_pk_add_f16 v14, v32, v15
	v_fma_f16 v15, v42, 0xb08e, -v64
	v_pk_fma_f16 v30, 0xbbadb08e, v42, v64
	v_pk_mul_f16 v32, 0x3bebba0c, v21
	v_add_f16_e32 v16, v16, v17
	v_fmamk_f16 v17, v28, 0x36a6, v13
	v_add_f16_e32 v12, v12, v15
	v_pk_add_f16 v14, v14, v30
	v_fma_f16 v15, v44, 0xb93d, -v32
	v_pk_fma_f16 v30, 0xb08eb93d, v44, v32
	v_pk_mul_f16 v32, 0x3b473beb, v39
	v_add_f16_e32 v16, v16, v17
	v_mul_f16_e32 v28, 0x36a6, v28
	v_add_f16_e32 v17, v12, v15
	v_pk_add_f16 v12, v14, v30
	v_pk_fma_f16 v14, 0x36a6b08e, v38, v32
	v_pk_mul_f16 v15, 0x3a0cb482, v22
	v_bfi_b32 v22, 0xffff, v33, v31
	v_pk_mul_f16 v31, 0xb482bb47, v43
	v_bfi_b32 v18, 0xffff, v18, v27
	v_pk_add_f16 v14, v40, v14
	v_pk_fma_f16 v15, 0xb93dbbad, v41, v15
	v_pk_add_f16 v19, v19, v22 neg_lo:[0,1] neg_hi:[0,1]
	v_bfi_b32 v22, 0xffff, v36, v29
	v_pack_b32_f16 v45, v8, v8
	v_pk_mul_f16 v54, 0x36a6b93d, v8 op_sel_hi:[1,0]
	v_pk_add_f16 v14, v14, v15
	v_pk_fma_f16 v15, 0xbbad36a6, v42, v31
	v_pk_add_f16 v19, v40, v19
	v_pk_add_f16 v20, v20, v22 neg_lo:[0,1] neg_hi:[0,1]
	v_bfi_b32 v22, 0xffff, v37, v52
	v_pk_mul_f16 v29, 0x3853b482, v50
	v_pk_add_f16 v14, v14, v15
	v_bfi_b32 v13, 0xffff, v13, v26
	v_pk_add_f16 v15, v19, v20
	v_pk_add_f16 v18, v22, v18 neg_lo:[0,1] neg_hi:[0,1]
	v_bfi_b32 v19, 0xffff, v28, v53
	v_mul_f16_e32 v20, 0xb08e, v8
	v_mul_f16_e32 v22, 0xbbeb, v24
	v_pk_mul_f16 v21, 0xbbeb3853, v21
	v_pk_fma_f16 v27, 0x3abbbbad, v45, v29
	v_pk_add_f16 v15, v15, v18
	v_pk_add_f16 v13, v19, v13 neg_lo:[0,1] neg_hi:[0,1]
	v_bfi_b32 v18, 0xffff, v20, v54
	v_bfi_b32 v19, 0xffff, v22, v25
	v_fmamk_f16 v8, v8, 0xb08e, v22
	v_pk_fma_f16 v20, 0xb08e3abb, v44, v21
	v_pk_mul_f16 v21, 0xb8533a0c, v50
	v_pk_mul_f16 v30, 0x3abbbbad, v45
	v_pk_add_f16 v13, v15, v13
	v_pk_add_f16 v15, v18, v19 neg_lo:[0,1] neg_hi:[0,1]
	v_pk_add_f16 v12, v12, v27
	v_add_f16_e32 v8, v16, v8
	v_pk_add_f16 v16, v14, v20
	v_pk_fma_f16 v18, 0x3abbb93d, v45, v21
	v_sub_f16_e32 v29, v30, v29
	v_pk_add_f16 v15, v13, v15
	v_mad_u32_u24 v19, v7, 22, 0
	v_alignbit_b32 v14, v8, v23, 16
	v_alignbit_b32 v13, v23, v12, 16
	v_pack_b32_f16 v12, v34, v12
	v_pk_add_f16 v8, v16, v18
	v_add_f16_e32 v16, v17, v29
	ds_write_b128 v19, v[12:15]
	ds_write_b32 v19, v8 offset:16
	ds_write_b16 v19, v16 offset:20
.LBB0_21:
	s_or_b32 exec_lo, exec_lo, s4
	s_waitcnt lgkmcnt(0)
	s_barrier
	buffer_gl0_inv
	ds_read_u16 v13, v0
	ds_read_u16 v14, v0 offset:220
	ds_read_u16 v15, v0 offset:440
	;; [unrolled: 1-line block ×13, first 2 shown]
	s_and_saveexec_b32 s1, s0
	s_cbranch_execz .LBB0_23
; %bb.22:
	ds_read_u16 v23, v0 offset:1540
	s_waitcnt lgkmcnt(0)
	ds_read_u16_d16_hi v23, v0 offset:3190
.LBB0_23:
	s_or_b32 exec_lo, exec_lo, s1
	v_and_b32_e32 v26, 0xff, v11
	v_and_b32_e32 v12, 0xff, v7
	v_add_nc_u32_e32 v8, 0xdc, v11
	v_mov_b32_e32 v33, 0xba2f
	v_add_nc_u32_e32 v28, 0x14a, v11
	v_mul_lo_u16 v26, 0x75, v26
	v_mul_lo_u16 v27, 0x75, v12
	v_add_nc_u32_e32 v29, 0x1b8, v11
	v_mul_u32_u24_sdwa v36, v8, v33 dst_sel:DWORD dst_unused:UNUSED_PAD src0_sel:WORD_0 src1_sel:DWORD
	v_add_nc_u32_e32 v32, 0x226, v11
	v_lshrrev_b16 v26, 8, v26
	v_lshrrev_b16 v27, 8, v27
	v_add_nc_u32_e32 v34, 0x294, v11
	v_lshrrev_b32_e32 v36, 19, v36
	v_mul_u32_u24_sdwa v39, v28, v33 dst_sel:DWORD dst_unused:UNUSED_PAD src0_sel:WORD_0 src1_sel:DWORD
	v_sub_nc_u16 v37, v11, v26
	v_sub_nc_u16 v38, v7, v27
	v_mul_u32_u24_sdwa v40, v29, v33 dst_sel:DWORD dst_unused:UNUSED_PAD src0_sel:WORD_0 src1_sel:DWORD
	v_mul_u32_u24_sdwa v41, v32, v33 dst_sel:DWORD dst_unused:UNUSED_PAD src0_sel:WORD_0 src1_sel:DWORD
	;; [unrolled: 1-line block ×3, first 2 shown]
	v_lshrrev_b16 v37, 1, v37
	v_lshrrev_b16 v38, 1, v38
	v_lshrrev_b32_e32 v43, 19, v39
	v_lshrrev_b32_e32 v44, 19, v40
	;; [unrolled: 1-line block ×3, first 2 shown]
	v_and_b32_e32 v37, 0x7f, v37
	v_and_b32_e32 v38, 0x7f, v38
	v_lshrrev_b32_e32 v42, 19, v42
	v_mul_lo_u16 v39, v44, 11
	v_mov_b32_e32 v35, 2
	v_add_nc_u16 v26, v37, v26
	v_add_nc_u16 v27, v38, v27
	v_mul_lo_u16 v37, v36, 11
	v_mul_lo_u16 v38, v43, 11
	v_sub_nc_u16 v55, v29, v39
	v_lshrrev_b16 v51, 3, v26
	v_lshrrev_b16 v52, 3, v27
	v_sub_nc_u16 v50, v8, v37
	v_mul_lo_u16 v26, v45, 11
	v_mul_lo_u16 v27, v42, 11
	;; [unrolled: 1-line block ×4, first 2 shown]
	v_sub_nc_u16 v54, v28, v38
	v_sub_nc_u16 v63, v32, v26
	;; [unrolled: 1-line block ×5, first 2 shown]
	v_lshlrev_b32_sdwa v26, v35, v50 dst_sel:DWORD dst_unused:UNUSED_PAD src0_sel:DWORD src1_sel:WORD_0
	v_lshlrev_b32_sdwa v32, v35, v54 dst_sel:DWORD dst_unused:UNUSED_PAD src0_sel:DWORD src1_sel:WORD_0
	v_lshlrev_b32_sdwa v38, v35, v55 dst_sel:DWORD dst_unused:UNUSED_PAD src0_sel:DWORD src1_sel:WORD_0
	v_lshlrev_b32_sdwa v27, v35, v64 dst_sel:DWORD dst_unused:UNUSED_PAD src0_sel:DWORD src1_sel:BYTE_0
	v_lshlrev_b32_sdwa v34, v35, v65 dst_sel:DWORD dst_unused:UNUSED_PAD src0_sel:DWORD src1_sel:BYTE_0
	v_lshlrev_b32_sdwa v39, v35, v63 dst_sel:DWORD dst_unused:UNUSED_PAD src0_sel:DWORD src1_sel:WORD_0
	v_lshlrev_b32_sdwa v53, v35, v66 dst_sel:DWORD dst_unused:UNUSED_PAD src0_sel:DWORD src1_sel:WORD_0
	v_mov_b32_e32 v68, 44
	s_clause 0x6
	global_load_dword v40, v27, s[12:13]
	global_load_dword v41, v34, s[12:13]
	;; [unrolled: 1-line block ×7, first 2 shown]
	v_add_nc_u32_e32 v32, 0x302, v11
	v_mov_b32_e32 v53, 1
	v_mul_u32_u24_e32 v69, 44, v36
	v_mul_u32_u24_e32 v43, 44, v43
	v_mul_u32_u24_e32 v44, 44, v44
	v_mul_u32_u24_sdwa v33, v32, v33 dst_sel:DWORD dst_unused:UNUSED_PAD src0_sel:WORD_0 src1_sel:DWORD
	v_mul_u32_u24_e32 v70, 44, v45
	v_lshlrev_b32_sdwa v45, v53, v50 dst_sel:DWORD dst_unused:UNUSED_PAD src0_sel:DWORD src1_sel:WORD_0
	v_lshlrev_b32_sdwa v54, v53, v54 dst_sel:DWORD dst_unused:UNUSED_PAD src0_sel:DWORD src1_sel:WORD_0
	;; [unrolled: 1-line block ×3, first 2 shown]
	v_lshrrev_b32_e32 v67, 19, v33
	v_mul_u32_u24_sdwa v51, v51, v68 dst_sel:DWORD dst_unused:UNUSED_PAD src0_sel:WORD_0 src1_sel:DWORD
	v_add3_u32 v50, 0, v69, v45
	v_add3_u32 v45, 0, v43, v54
	;; [unrolled: 1-line block ×3, first 2 shown]
	v_mul_lo_u16 v33, v67, 11
	v_mul_u32_u24_sdwa v54, v52, v68 dst_sel:DWORD dst_unused:UNUSED_PAD src0_sel:WORD_0 src1_sel:DWORD
	v_lshlrev_b32_sdwa v52, v53, v64 dst_sel:DWORD dst_unused:UNUSED_PAD src0_sel:DWORD src1_sel:BYTE_0
	v_lshlrev_b32_sdwa v55, v53, v65 dst_sel:DWORD dst_unused:UNUSED_PAD src0_sel:DWORD src1_sel:BYTE_0
	v_lshlrev_b32_sdwa v63, v53, v63 dst_sel:DWORD dst_unused:UNUSED_PAD src0_sel:DWORD src1_sel:WORD_0
	v_sub_nc_u16 v32, v32, v33
	v_mul_u32_u24_e32 v42, 44, v42
	v_lshlrev_b32_sdwa v66, v53, v66 dst_sel:DWORD dst_unused:UNUSED_PAD src0_sel:DWORD src1_sel:WORD_0
	v_add3_u32 v52, 0, v51, v52
	v_add3_u32 v51, 0, v54, v55
	v_lshlrev_b32_sdwa v33, v35, v32 dst_sel:DWORD dst_unused:UNUSED_PAD src0_sel:DWORD src1_sel:WORD_0
	v_add3_u32 v43, 0, v70, v63
	v_mul_lo_u16 v36, v67, 22
	v_add3_u32 v42, 0, v42, v66
	s_waitcnt lgkmcnt(0)
	v_lshrrev_b32_e32 v34, 16, v23
	global_load_dword v33, v33, s[12:13]
	v_lshrrev_b32_e32 v35, 16, v5
	s_waitcnt vmcnt(0)
	s_barrier
	buffer_gl0_inv
	v_mul_f16_sdwa v54, v24, v40 dst_sel:DWORD dst_unused:UNUSED_PAD src0_sel:DWORD src1_sel:WORD_1
	v_mul_f16_sdwa v55, v25, v41 dst_sel:DWORD dst_unused:UNUSED_PAD src0_sel:DWORD src1_sel:WORD_1
	;; [unrolled: 1-line block ×7, first 2 shown]
	v_fma_f16 v54, v48, v40, -v54
	v_fma_f16 v55, v49, v41, -v55
	v_fma_f16 v63, v47, v27, -v63
	v_fma_f16 v64, v46, v37, -v64
	v_fma_f16 v65, v10, v38, -v65
	v_fma_f16 v66, v9, v39, -v66
	v_fma_f16 v67, v6, v26, -v67
	v_sub_f16_e32 v54, v56, v54
	v_sub_f16_e32 v55, v57, v55
	;; [unrolled: 1-line block ×7, first 2 shown]
	v_fma_f16 v56, v56, 2.0, -v54
	v_fma_f16 v57, v57, 2.0, -v55
	;; [unrolled: 1-line block ×7, first 2 shown]
	ds_write_b16 v52, v54 offset:22
	ds_write_b16 v52, v56
	ds_write_b16 v51, v57
	ds_write_b16 v51, v55 offset:22
	ds_write_b16 v50, v58
	ds_write_b16 v50, v63 offset:22
	;; [unrolled: 2-line block ×6, first 2 shown]
	s_and_saveexec_b32 s1, s0
	s_cbranch_execz .LBB0_25
; %bb.24:
	v_mul_f16_sdwa v54, v34, v33 dst_sel:DWORD dst_unused:UNUSED_PAD src0_sel:DWORD src1_sel:WORD_1
	v_lshlrev_b32_sdwa v55, v53, v32 dst_sel:DWORD dst_unused:UNUSED_PAD src0_sel:DWORD src1_sel:WORD_0
	v_lshlrev_b32_sdwa v53, v53, v36 dst_sel:DWORD dst_unused:UNUSED_PAD src0_sel:DWORD src1_sel:WORD_0
	v_fma_f16 v54, v35, v33, -v54
	v_add3_u32 v53, 0, v55, v53
	v_sub_f16_e32 v54, v5, v54
	v_fma_f16 v5, v5, 2.0, -v54
	ds_write_b16 v53, v5
	ds_write_b16 v53, v54 offset:22
.LBB0_25:
	s_or_b32 exec_lo, exec_lo, s1
	v_mul_f16_sdwa v5, v48, v40 dst_sel:DWORD dst_unused:UNUSED_PAD src0_sel:DWORD src1_sel:WORD_1
	v_mul_f16_sdwa v48, v49, v41 dst_sel:DWORD dst_unused:UNUSED_PAD src0_sel:DWORD src1_sel:WORD_1
	;; [unrolled: 1-line block ×5, first 2 shown]
	v_fmac_f16_e32 v5, v24, v40
	v_fmac_f16_e32 v48, v25, v41
	v_mul_f16_sdwa v9, v9, v39 dst_sel:DWORD dst_unused:UNUSED_PAD src0_sel:DWORD src1_sel:WORD_1
	v_fmac_f16_e32 v47, v19, v27
	v_fmac_f16_e32 v46, v20, v37
	;; [unrolled: 1-line block ×3, first 2 shown]
	v_mul_f16_sdwa v6, v6, v26 dst_sel:DWORD dst_unused:UNUSED_PAD src0_sel:DWORD src1_sel:WORD_1
	v_fmac_f16_e32 v9, v22, v39
	v_sub_f16_e32 v5, v13, v5
	v_sub_f16_e32 v37, v14, v48
	;; [unrolled: 1-line block ×5, first 2 shown]
	v_fmac_f16_e32 v6, v18, v26
	v_fma_f16 v41, v13, 2.0, -v5
	v_fma_f16 v46, v14, 2.0, -v37
	;; [unrolled: 1-line block ×5, first 2 shown]
	s_waitcnt lgkmcnt(0)
	s_barrier
	buffer_gl0_inv
	ds_read_u16 v18, v0 offset:1320
	ds_read_u16 v17, v0 offset:1540
	ds_read_u16 v16, v0
	ds_read_u16 v15, v0 offset:220
	ds_read_u16 v13, v0 offset:440
	;; [unrolled: 1-line block ×12, first 2 shown]
	v_sub_f16_e32 v9, v30, v9
	v_sub_f16_e32 v6, v31, v6
	s_waitcnt lgkmcnt(0)
	s_barrier
	buffer_gl0_inv
	v_fma_f16 v30, v30, 2.0, -v9
	v_fma_f16 v31, v31, 2.0, -v6
	ds_write_b16 v52, v41
	ds_write_b16 v52, v5 offset:22
	ds_write_b16 v51, v46
	ds_write_b16 v51, v37 offset:22
	;; [unrolled: 2-line block ×7, first 2 shown]
	s_and_saveexec_b32 s1, s0
	s_cbranch_execz .LBB0_27
; %bb.26:
	v_mul_f16_sdwa v5, v35, v33 dst_sel:DWORD dst_unused:UNUSED_PAD src0_sel:DWORD src1_sel:WORD_1
	v_mov_b32_e32 v6, 1
	v_fmac_f16_e32 v5, v34, v33
	v_lshlrev_b32_sdwa v9, v6, v32 dst_sel:DWORD dst_unused:UNUSED_PAD src0_sel:DWORD src1_sel:WORD_0
	v_lshlrev_b32_sdwa v6, v6, v36 dst_sel:DWORD dst_unused:UNUSED_PAD src0_sel:DWORD src1_sel:WORD_0
	v_sub_f16_e32 v5, v23, v5
	v_add3_u32 v6, 0, v9, v6
	v_fma_f16 v9, v23, 2.0, -v5
	ds_write_b16 v6, v9
	ds_write_b16 v6, v5 offset:22
.LBB0_27:
	s_or_b32 exec_lo, exec_lo, s1
	v_lshrrev_b16 v5, 1, v11
	v_mov_b32_e32 v6, 0xba2f
	v_lshrrev_b16 v23, 1, v12
	v_mov_b32_e32 v35, 3
	s_waitcnt lgkmcnt(0)
	v_and_b32_e32 v5, 0x7f, v5
	v_mul_u32_u24_sdwa v9, v29, v6 dst_sel:DWORD dst_unused:UNUSED_PAD src0_sel:WORD_0 src1_sel:DWORD
	v_mul_u32_u24_sdwa v30, v8, v6 dst_sel:DWORD dst_unused:UNUSED_PAD src0_sel:WORD_0 src1_sel:DWORD
	s_barrier
	buffer_gl0_inv
	v_mul_lo_u16 v5, 0xbb, v5
	v_lshrrev_b32_e32 v41, 20, v9
	v_mul_lo_u16 v9, 0xbb, v23
	v_lshrrev_b32_e32 v40, 20, v30
	v_cmp_gt_u32_e64 s0, 0x42, v11
	v_lshrrev_b16 v23, 11, v5
	v_mul_lo_u16 v5, v41, 22
	v_lshrrev_b16 v39, 11, v9
	v_mov_b32_e32 v62, 0x84
	v_mul_u32_u24_e32 v68, 0x84, v40
	v_mul_lo_u16 v9, v23, 22
	v_sub_nc_u16 v42, v29, v5
	v_mul_u32_u24_sdwa v5, v28, v6 dst_sel:DWORD dst_unused:UNUSED_PAD src0_sel:WORD_0 src1_sel:DWORD
	v_mul_lo_u16 v6, v39, 22
	v_mul_u32_u24_e32 v41, 0x84, v41
	v_sub_nc_u16 v43, v11, v9
	v_lshlrev_b32_sdwa v9, v35, v42 dst_sel:DWORD dst_unused:UNUSED_PAD src0_sel:DWORD src1_sel:WORD_0
	v_lshrrev_b32_e32 v44, 20, v5
	v_sub_nc_u16 v45, v7, v6
	v_mul_lo_u16 v5, v40, 22
	v_lshlrev_b32_sdwa v6, v35, v43 dst_sel:DWORD dst_unused:UNUSED_PAD src0_sel:DWORD src1_sel:BYTE_0
	global_load_dwordx2 v[29:30], v9, s[12:13] offset:44
	v_mul_u32_u24_sdwa v23, v23, v62 dst_sel:DWORD dst_unused:UNUSED_PAD src0_sel:WORD_0 src1_sel:DWORD
	v_mov_b32_e32 v65, 4
	v_sub_nc_u16 v46, v8, v5
	global_load_dwordx2 v[31:32], v6, s[12:13] offset:44
	v_mul_lo_u16 v9, v44, 22
	v_lshlrev_b32_sdwa v5, v35, v45 dst_sel:DWORD dst_unused:UNUSED_PAD src0_sel:DWORD src1_sel:BYTE_0
	v_sub_nc_u16 v28, v28, v9
	global_load_dwordx2 v[33:34], v5, s[12:13] offset:44
	v_lshlrev_b32_sdwa v6, v35, v46 dst_sel:DWORD dst_unused:UNUSED_PAD src0_sel:DWORD src1_sel:WORD_0
	v_mov_b32_e32 v9, 1
	v_lshlrev_b32_sdwa v5, v35, v28 dst_sel:DWORD dst_unused:UNUSED_PAD src0_sel:DWORD src1_sel:WORD_0
	s_clause 0x1
	global_load_dwordx2 v[35:36], v6, s[12:13] offset:44
	global_load_dwordx2 v[37:38], v5, s[12:13] offset:44
	ds_read_u16 v47, v0 offset:1320
	ds_read_u16 v48, v0 offset:1540
	ds_read_u16 v49, v0
	ds_read_u16 v50, v0 offset:220
	ds_read_u16 v51, v0 offset:440
	;; [unrolled: 1-line block ×12, first 2 shown]
	v_add_nc_u32_e32 v5, 0xffffffbe, v11
	v_mul_lo_u16 v6, 0xf9, v12
	v_mov_b32_e32 v12, 0xf83f
	v_lshlrev_b32_sdwa v45, v9, v45 dst_sel:DWORD dst_unused:UNUSED_PAD src0_sel:DWORD src1_sel:BYTE_0
	v_lshlrev_b32_sdwa v46, v9, v46 dst_sel:DWORD dst_unused:UNUSED_PAD src0_sel:DWORD src1_sel:WORD_0
	v_cndmask_b32_e64 v63, v5, v11, s0
	v_lshrrev_b16 v64, 14, v6
	v_mul_u32_u24_sdwa v12, v8, v12 dst_sel:DWORD dst_unused:UNUSED_PAD src0_sel:WORD_0 src1_sel:DWORD
	v_mov_b32_e32 v6, 0
	v_lshlrev_b32_sdwa v28, v9, v28 dst_sel:DWORD dst_unused:UNUSED_PAD src0_sel:DWORD src1_sel:WORD_0
	v_lshlrev_b32_e32 v5, 2, v63
	v_lshlrev_b32_sdwa v42, v9, v42 dst_sel:DWORD dst_unused:UNUSED_PAD src0_sel:DWORD src1_sel:WORD_0
	v_lshrrev_b32_e32 v67, 22, v12
	v_mul_u32_u24_sdwa v12, v39, v62 dst_sel:DWORD dst_unused:UNUSED_PAD src0_sel:WORD_0 src1_sel:DWORD
	v_lshlrev_b32_sdwa v43, v9, v43 dst_sel:DWORD dst_unused:UNUSED_PAD src0_sel:DWORD src1_sel:BYTE_0
	v_lshlrev_b64 v[39:40], 2, v[5:6]
	v_mul_u32_u24_e32 v5, 0x84, v44
	v_mul_lo_u16 v66, 0x42, v64
	v_add3_u32 v45, 0, v12, v45
	v_add3_u32 v46, 0, v68, v46
	;; [unrolled: 1-line block ×5, first 2 shown]
	v_sub_nc_u16 v44, v7, v66
	s_waitcnt vmcnt(0) lgkmcnt(0)
	s_barrier
	buffer_gl0_inv
	v_add_co_u32 v39, s0, s12, v39
	v_add_co_ci_u32_e64 v40, s0, s13, v40, s0
	v_cmp_lt_u32_e64 s0, 0x41, v11
	v_mul_f16_sdwa v5, v61, v29 dst_sel:DWORD dst_unused:UNUSED_PAD src0_sel:DWORD src1_sel:WORD_1
	v_mul_f16_sdwa v12, v27, v29 dst_sel:DWORD dst_unused:UNUSED_PAD src0_sel:DWORD src1_sel:WORD_1
	;; [unrolled: 1-line block ×8, first 2 shown]
	v_fma_f16 v5, v27, v29, -v5
	v_fmac_f16_e32 v12, v61, v29
	v_fma_f16 v26, v26, v30, -v42
	v_mul_f16_sdwa v70, v47, v33 dst_sel:DWORD dst_unused:UNUSED_PAD src0_sel:DWORD src1_sel:WORD_1
	v_mul_f16_sdwa v72, v56, v34 dst_sel:DWORD dst_unused:UNUSED_PAD src0_sel:DWORD src1_sel:WORD_1
	;; [unrolled: 1-line block ×4, first 2 shown]
	v_fmac_f16_e32 v43, v59, v30
	v_fma_f16 v24, v24, v31, -v62
	v_fma_f16 v25, v25, v32, -v68
	v_mul_f16_sdwa v75, v17, v35 dst_sel:DWORD dst_unused:UNUSED_PAD src0_sel:DWORD src1_sel:WORD_1
	v_mul_f16_sdwa v77, v21, v36 dst_sel:DWORD dst_unused:UNUSED_PAD src0_sel:DWORD src1_sel:WORD_1
	;; [unrolled: 1-line block ×8, first 2 shown]
	v_fmac_f16_e32 v66, v54, v31
	v_fmac_f16_e32 v69, v60, v32
	v_fma_f16 v18, v18, v33, -v70
	v_fma_f16 v22, v22, v34, -v72
	v_fmac_f16_e32 v75, v48, v35
	v_fmac_f16_e32 v77, v57, v36
	v_fma_f16 v19, v19, v37, -v78
	v_fma_f16 v20, v20, v38, -v80
	;; [unrolled: 4-line block ×3, first 2 shown]
	v_add_f16_e32 v29, v5, v26
	v_sub_f16_e32 v30, v12, v43
	v_add_f16_e32 v31, v55, v12
	v_add_f16_e32 v12, v12, v43
	;; [unrolled: 1-line block ×3, first 2 shown]
	v_fmac_f16_e32 v79, v53, v37
	v_fmac_f16_e32 v81, v58, v38
	v_add_f16_e32 v36, v66, v69
	v_add_f16_e32 v38, v18, v22
	;; [unrolled: 1-line block ×8, first 2 shown]
	v_sub_f16_e32 v5, v5, v26
	v_sub_f16_e32 v34, v66, v69
	v_fmac_f16_e32 v14, -0.5, v29
	v_fmac_f16_e32 v55, -0.5, v12
	;; [unrolled: 1-line block ×3, first 2 shown]
	v_add_f16_e32 v37, v15, v18
	v_add_f16_e32 v35, v49, v66
	v_sub_f16_e32 v24, v24, v25
	v_sub_f16_e32 v42, v71, v73
	v_add_f16_e32 v53, v13, v17
	v_add_f16_e32 v57, v51, v75
	v_sub_f16_e32 v17, v17, v21
	v_add_f16_e32 v59, v10, v19
	v_sub_f16_e32 v61, v79, v81
	v_fmac_f16_e32 v49, -0.5, v36
	v_fmac_f16_e32 v15, -0.5, v38
	;; [unrolled: 1-line block ×4, first 2 shown]
	v_add_f16_e32 v47, v50, v71
	v_sub_f16_e32 v18, v18, v22
	v_sub_f16_e32 v56, v75, v77
	v_add_f16_e32 v66, v79, v81
	v_add_f16_e32 v12, v32, v25
	v_fmac_f16_e32 v50, -0.5, v48
	v_fmac_f16_e32 v13, -0.5, v54
	v_fmamk_f16 v33, v30, 0x3aee, v14
	v_fmac_f16_e32 v14, 0xbaee, v30
	v_fmamk_f16 v30, v5, 0xbaee, v55
	v_fmac_f16_e32 v55, 0x3aee, v5
	v_fmamk_f16 v5, v34, 0x3aee, v16
	v_fmac_f16_e32 v16, 0xbaee, v34
	v_add_f16_e32 v22, v37, v22
	v_fmamk_f16 v34, v24, 0xbaee, v49
	v_fmac_f16_e32 v49, 0x3aee, v24
	v_fmamk_f16 v24, v42, 0x3aee, v15
	v_fmamk_f16 v36, v17, 0xbaee, v51
	v_fmac_f16_e32 v51, 0x3aee, v17
	v_fmamk_f16 v17, v61, 0x3aee, v10
	v_add_f16_e32 v62, v52, v79
	v_sub_f16_e32 v19, v19, v20
	v_add_f16_e32 v26, v27, v26
	v_add_f16_e32 v25, v35, v69
	;; [unrolled: 1-line block ×4, first 2 shown]
	v_fmac_f16_e32 v52, -0.5, v66
	v_fmac_f16_e32 v15, 0xbaee, v42
	v_fmamk_f16 v35, v18, 0xbaee, v50
	v_fmac_f16_e32 v50, 0x3aee, v18
	v_fmamk_f16 v18, v56, 0x3aee, v13
	v_fmac_f16_e32 v13, 0xbaee, v56
	v_fmac_f16_e32 v10, 0xbaee, v61
	ds_write_b16 v23, v12
	ds_write_b16 v23, v5 offset:44
	ds_write_b16 v23, v16 offset:88
	ds_write_b16 v45, v22
	ds_write_b16 v45, v24 offset:44
	ds_write_b16 v45, v15 offset:88
	;; [unrolled: 3-line block ×5, first 2 shown]
	v_mul_lo_u16 v17, 0x42, v67
	v_add_f16_e32 v29, v47, v73
	v_add_f16_e32 v27, v31, v43
	;; [unrolled: 1-line block ×4, first 2 shown]
	v_fmamk_f16 v37, v19, 0xbaee, v52
	v_fmac_f16_e32 v52, 0x3aee, v19
	s_waitcnt lgkmcnt(0)
	s_barrier
	buffer_gl0_inv
	ds_read_u16 v12, v0
	ds_read_u16 v5, v0 offset:220
	ds_read_u16 v26, v0 offset:880
	;; [unrolled: 1-line block ×14, first 2 shown]
	s_waitcnt lgkmcnt(0)
	s_barrier
	buffer_gl0_inv
	ds_write_b16 v23, v25
	ds_write_b16 v23, v34 offset:44
	ds_write_b16 v23, v49 offset:88
	ds_write_b16 v45, v29
	ds_write_b16 v45, v35 offset:44
	ds_write_b16 v45, v50 offset:88
	;; [unrolled: 3-line block ×5, first 2 shown]
	v_sub_nc_u16 v25, v8, v17
	v_lshlrev_b32_sdwa v18, v65, v44 dst_sel:DWORD dst_unused:UNUSED_PAD src0_sel:DWORD src1_sel:BYTE_0
	s_waitcnt lgkmcnt(0)
	s_barrier
	buffer_gl0_inv
	v_lshlrev_b32_sdwa v21, v65, v25 dst_sel:DWORD dst_unused:UNUSED_PAD src0_sel:DWORD src1_sel:WORD_0
	s_clause 0x1
	global_load_dwordx4 v[13:16], v[39:40], off offset:220
	global_load_dwordx4 v[17:20], v18, s[12:13] offset:220
	v_mov_b32_e32 v27, 0x294
	v_cndmask_b32_e64 v28, 0, 0x294, s0
	global_load_dwordx4 v[21:24], v21, s[12:13] offset:220
	v_lshlrev_b32_e32 v29, 1, v63
	v_lshlrev_b32_sdwa v30, v9, v44 dst_sel:DWORD dst_unused:UNUSED_PAD src0_sel:DWORD src1_sel:BYTE_0
	v_mul_u32_u24_sdwa v27, v64, v27 dst_sel:DWORD dst_unused:UNUSED_PAD src0_sel:WORD_0 src1_sel:DWORD
	v_mul_u32_u24_e32 v31, 0x294, v67
	v_lshlrev_b32_sdwa v9, v9, v25 dst_sel:DWORD dst_unused:UNUSED_PAD src0_sel:DWORD src1_sel:WORD_0
	v_add3_u32 v25, 0, v28, v29
	ds_read_u16 v28, v0 offset:660
	ds_read_u16 v29, v0 offset:1320
	v_add3_u32 v27, 0, v27, v30
	v_add3_u32 v30, 0, v31, v9
	ds_read_u16 v9, v0 offset:1980
	ds_read_u16 v31, v0 offset:2640
	ds_read_u16 v32, v0
	ds_read_u16 v34, v0 offset:220
	ds_read_u16 v35, v0 offset:880
	;; [unrolled: 1-line block ×10, first 2 shown]
	s_waitcnt vmcnt(0) lgkmcnt(0)
	s_barrier
	buffer_gl0_inv
	v_mul_f16_sdwa v49, v28, v13 dst_sel:DWORD dst_unused:UNUSED_PAD src0_sel:DWORD src1_sel:WORD_1
	v_mul_f16_sdwa v50, v47, v13 dst_sel:DWORD dst_unused:UNUSED_PAD src0_sel:DWORD src1_sel:WORD_1
	;; [unrolled: 1-line block ×24, first 2 shown]
	v_fma_f16 v47, v47, v13, -v49
	v_fmac_f16_e32 v50, v28, v13
	v_fma_f16 v13, v42, v14, -v51
	v_fmac_f16_e32 v52, v29, v14
	;; [unrolled: 2-line block ×10, first 2 shown]
	v_fma_f16 v21, v56, v23, -v74
	v_fma_f16 v22, v53, v24, -v76
	v_fmac_f16_e32 v75, v45, v23
	v_fmac_f16_e32 v77, v44, v24
	v_add_f16_e32 v23, v12, v47
	v_add_f16_e32 v24, v13, v14
	;; [unrolled: 1-line block ×3, first 2 shown]
	v_sub_f16_e32 v29, v47, v13
	v_sub_f16_e32 v31, v9, v14
	v_sub_f16_e32 v35, v13, v47
	v_add_f16_e32 v37, v32, v50
	v_sub_f16_e32 v39, v47, v9
	v_add_f16_e32 v47, v5, v15
	v_add_f16_e32 v48, v16, v17
	;; [unrolled: 1-line block ×6, first 2 shown]
	v_sub_f16_e32 v26, v50, v61
	v_sub_f16_e32 v41, v13, v14
	v_add_f16_e32 v13, v23, v13
	v_fma_f16 v23, -0.5, v24, v12
	v_sub_f16_e32 v28, v52, v59
	v_sub_f16_e32 v36, v14, v9
	;; [unrolled: 1-line block ×6, first 2 shown]
	v_fmac_f16_e32 v12, -0.5, v33
	v_add_f16_e32 v38, v52, v59
	v_add_f16_e32 v44, v50, v61
	v_sub_f16_e32 v45, v52, v50
	v_sub_f16_e32 v46, v59, v61
	;; [unrolled: 1-line block ×4, first 2 shown]
	v_add_f16_e32 v58, v65, v67
	v_sub_f16_e32 v60, v16, v17
	v_sub_f16_e32 v62, v63, v65
	;; [unrolled: 1-line block ×3, first 2 shown]
	v_add_f16_e32 v66, v63, v69
	v_sub_f16_e32 v74, v71, v77
	v_sub_f16_e32 v76, v73, v75
	;; [unrolled: 1-line block ×5, first 2 shown]
	v_add_f16_e32 v24, v29, v31
	v_add_f16_e32 v31, v37, v52
	;; [unrolled: 1-line block ×3, first 2 shown]
	v_fma_f16 v37, -0.5, v48, v5
	v_add_f16_e32 v20, v70, v20
	v_fma_f16 v47, -0.5, v72, v10
	v_fmac_f16_e32 v10, -0.5, v80
	v_sub_f16_e32 v50, v65, v67
	v_sub_f16_e32 v53, v18, v17
	v_add_f16_e32 v84, v73, v75
	v_add_f16_e32 v88, v71, v77
	v_fmac_f16_e32 v5, -0.5, v54
	v_add_f16_e32 v13, v13, v14
	v_fmamk_f16 v14, v26, 0x3b9c, v23
	v_add_f16_e32 v29, v35, v36
	v_add_f16_e32 v35, v42, v43
	;; [unrolled: 1-line block ×3, first 2 shown]
	v_fmamk_f16 v56, v28, 0xbb9c, v12
	v_fmac_f16_e32 v12, 0x3b9c, v28
	v_add_f16_e32 v57, v34, v63
	v_sub_f16_e32 v63, v65, v63
	v_sub_f16_e32 v68, v67, v69
	;; [unrolled: 1-line block ×4, first 2 shown]
	v_fma_f16 v33, -0.5, v38, v32
	v_fmac_f16_e32 v32, -0.5, v44
	v_add_f16_e32 v36, v45, v46
	v_fma_f16 v44, -0.5, v58, v34
	v_add_f16_e32 v45, v62, v64
	v_fmac_f16_e32 v34, -0.5, v66
	v_fmac_f16_e32 v23, 0xbb9c, v26
	v_add_f16_e32 v16, v16, v17
	v_fmamk_f16 v17, v49, 0x3b9c, v37
	v_add_f16_e32 v20, v20, v21
	v_fmamk_f16 v21, v74, 0x3b9c, v47
	v_fmamk_f16 v64, v76, 0xbb9c, v10
	v_fmac_f16_e32 v10, 0x3b9c, v76
	v_add_f16_e32 v83, v40, v71
	v_add_f16_e32 v38, v51, v53
	v_fma_f16 v53, -0.5, v84, v40
	v_fmac_f16_e32 v40, -0.5, v88
	v_add_f16_e32 v31, v31, v59
	v_fmac_f16_e32 v37, 0xbb9c, v49
	v_fmamk_f16 v59, v50, 0xbb9c, v5
	v_fmac_f16_e32 v5, 0x3b9c, v50
	v_fmac_f16_e32 v47, 0xbb9c, v74
	;; [unrolled: 1-line block ×5, first 2 shown]
	v_sub_f16_e32 v15, v15, v18
	v_add_f16_e32 v46, v63, v68
	v_add_f16_e32 v48, v78, v79
	;; [unrolled: 1-line block ×3, first 2 shown]
	v_fmamk_f16 v63, v60, 0x3b9c, v34
	v_fmac_f16_e32 v34, 0xbb9c, v60
	v_fmac_f16_e32 v23, 0xb8b4, v28
	;; [unrolled: 1-line block ×5, first 2 shown]
	v_sub_f16_e32 v19, v19, v22
	v_fmamk_f16 v66, v85, 0x3b9c, v40
	v_fmac_f16_e32 v40, 0xbb9c, v85
	v_add_f16_e32 v9, v13, v9
	v_fmac_f16_e32 v37, 0xb8b4, v50
	v_fmac_f16_e32 v59, 0x38b4, v49
	;; [unrolled: 1-line block ×8, first 2 shown]
	v_fmamk_f16 v62, v15, 0xbb9c, v44
	v_fmac_f16_e32 v44, 0x3b9c, v15
	v_add_f16_e32 v13, v16, v18
	v_fmac_f16_e32 v63, 0xb8b4, v15
	v_fmac_f16_e32 v34, 0x38b4, v15
	v_add_f16_e32 v15, v20, v22
	v_fmac_f16_e32 v23, 0x34f2, v24
	v_fmac_f16_e32 v17, 0x34f2, v38
	;; [unrolled: 1-line block ×4, first 2 shown]
	v_add_f16_e32 v43, v57, v65
	v_fmamk_f16 v65, v19, 0xbb9c, v53
	v_fmac_f16_e32 v53, 0x3b9c, v19
	v_fmac_f16_e32 v66, 0xb8b4, v19
	v_fmac_f16_e32 v40, 0x38b4, v19
	v_fmac_f16_e32 v37, 0x34f2, v38
	v_fmac_f16_e32 v59, 0x34f2, v42
	v_fmac_f16_e32 v5, 0x34f2, v42
	v_fmac_f16_e32 v47, 0x34f2, v48
	v_fmac_f16_e32 v64, 0x34f2, v51
	ds_write_b16 v25, v9
	ds_write_b16 v25, v14 offset:132
	ds_write_b16 v25, v56 offset:264
	ds_write_b16 v25, v12 offset:396
	ds_write_b16 v25, v23 offset:528
	ds_write_b16 v27, v13
	ds_write_b16 v27, v17 offset:132
	ds_write_b16 v27, v59 offset:264
	ds_write_b16 v27, v5 offset:396
	ds_write_b16 v27, v37 offset:528
	;; [unrolled: 5-line block ×3, first 2 shown]
	s_waitcnt lgkmcnt(0)
	s_barrier
	buffer_gl0_inv
	ds_read_u16 v9, v0
	ds_read_u16 v10, v0 offset:220
	ds_read_u16 v17, v0 offset:880
	;; [unrolled: 1-line block ×14, first 2 shown]
	v_fmamk_f16 v57, v39, 0xbb9c, v33
	v_fmamk_f16 v58, v41, 0x3b9c, v32
	v_fmac_f16_e32 v32, 0xbb9c, v41
	v_fmac_f16_e32 v33, 0x3b9c, v39
	v_sub_f16_e32 v86, v71, v73
	v_sub_f16_e32 v87, v77, v75
	;; [unrolled: 1-line block ×4, first 2 shown]
	v_add_f16_e32 v52, v83, v73
	v_fmac_f16_e32 v57, 0xb8b4, v41
	v_fmac_f16_e32 v58, 0xb8b4, v39
	;; [unrolled: 1-line block ×4, first 2 shown]
	v_add_f16_e32 v54, v86, v87
	v_add_f16_e32 v55, v71, v89
	;; [unrolled: 1-line block ×5, first 2 shown]
	v_fmac_f16_e32 v62, 0xb8b4, v60
	v_fmac_f16_e32 v44, 0x38b4, v60
	;; [unrolled: 1-line block ×8, first 2 shown]
	v_add_f16_e32 v28, v43, v69
	v_add_f16_e32 v31, v52, v77
	v_fmac_f16_e32 v62, 0x34f2, v45
	v_fmac_f16_e32 v44, 0x34f2, v45
	;; [unrolled: 1-line block ×8, first 2 shown]
	s_waitcnt lgkmcnt(0)
	s_barrier
	buffer_gl0_inv
	ds_write_b16 v25, v26
	ds_write_b16 v25, v57 offset:132
	ds_write_b16 v25, v58 offset:264
	ds_write_b16 v25, v32 offset:396
	ds_write_b16 v25, v33 offset:528
	ds_write_b16 v27, v28
	ds_write_b16 v27, v62 offset:132
	ds_write_b16 v27, v63 offset:264
	ds_write_b16 v27, v34 offset:396
	ds_write_b16 v27, v44 offset:528
	;; [unrolled: 5-line block ×3, first 2 shown]
	s_waitcnt lgkmcnt(0)
	s_barrier
	buffer_gl0_inv
	s_and_saveexec_b32 s0, vcc_lo
	s_cbranch_execz .LBB0_29
; %bb.28:
	v_lshlrev_b32_e32 v5, 2, v8
	v_mul_hi_u32 v37, 0x634c0635, v11
	v_add_nc_u32_e32 v40, 0x6e, v11
	v_add_nc_u32_e32 v42, 0xdc, v11
	v_mov_b32_e32 v38, v6
	v_lshlrev_b64 v[25:26], 2, v[5:6]
	v_lshlrev_b32_e32 v5, 2, v7
	v_mul_hi_u32 v43, 0x634c0635, v40
	v_mul_hi_u32 v44, 0x634c0635, v42
	v_lshrrev_b32_e32 v37, 7, v37
	v_mov_b32_e32 v39, v6
	v_lshlrev_b64 v[7:8], 2, v[5:6]
	v_add_co_u32 v25, vcc_lo, s12, v25
	v_add_co_ci_u32_e32 v26, vcc_lo, s13, v26, vcc_lo
	v_lshlrev_b32_e32 v5, 2, v11
	v_add_co_u32 v7, vcc_lo, s12, v7
	v_add_co_ci_u32_e32 v8, vcc_lo, s13, v8, vcc_lo
	global_load_dwordx4 v[25:28], v[25:26], off offset:1276
	v_lshrrev_b32_e32 v54, 7, v44
	v_mov_b32_e32 v41, v6
	global_load_dwordx4 v[29:32], v[7:8], off offset:1276
	v_lshlrev_b64 v[7:8], 2, v[5:6]
	v_mul_lo_u32 v5, s3, v3
	v_add_co_u32 v7, vcc_lo, s12, v7
	v_add_co_ci_u32_e32 v8, vcc_lo, s13, v8, vcc_lo
	global_load_dwordx4 v[33:36], v[7:8], off offset:1276
	v_mul_lo_u32 v7, s2, v4
	v_mad_u64_u32 v[3:4], null, s2, v3, 0
	ds_read_u16 v56, v0 offset:1760
	ds_read_u16 v57, v0 offset:3080
	;; [unrolled: 1-line block ×14, first 2 shown]
	ds_read_u16 v70, v0
	v_lshlrev_b64 v[0:1], 2, v[1:2]
	v_mov_b32_e32 v2, v6
	v_mov_b32_e32 v8, v6
	v_add3_u32 v4, v4, v7, v5
	v_mul_u32_u24_e32 v5, 0x14a, v37
	v_lshrrev_b32_e32 v7, 7, v43
	v_mul_u32_u24_e32 v37, 0x14a, v54
	v_mov_b32_e32 v43, v6
	v_lshlrev_b64 v[3:4], 2, v[3:4]
	v_sub_nc_u32_e32 v5, v11, v5
	v_mul_u32_u24_e32 v11, 0x14a, v7
	v_add_co_u32 v3, vcc_lo, s10, v3
	v_add_co_ci_u32_e32 v4, vcc_lo, s11, v4, vcc_lo
	v_lshlrev_b32_e32 v44, 2, v5
	v_sub_nc_u32_e32 v5, v40, v11
	v_add_co_u32 v71, vcc_lo, v3, v0
	v_add_co_ci_u32_e32 v72, vcc_lo, v4, v1, vcc_lo
	v_mad_u32_u24 v5, 0x672, v7, v5
	v_add_co_u32 v3, vcc_lo, v71, v44
	v_add_co_ci_u32_e32 v4, vcc_lo, 0, v72, vcc_lo
	v_add_nc_u32_e32 v1, 0x14a, v5
	v_lshlrev_b64 v[44:45], 2, v[5:6]
	v_add_co_u32 v46, vcc_lo, 0x800, v3
	v_add_nc_u32_e32 v7, 0x294, v5
	v_add_co_ci_u32_e32 v47, vcc_lo, 0, v4, vcc_lo
	v_sub_nc_u32_e32 v11, v42, v37
	v_add_nc_u32_e32 v37, 0x3de, v5
	v_add_nc_u32_e32 v5, 0x528, v5
	v_add_co_u32 v48, vcc_lo, 0x1000, v3
	v_lshlrev_b64 v[0:1], 2, v[1:2]
	v_add_co_ci_u32_e32 v49, vcc_lo, 0, v4, vcc_lo
	v_lshlrev_b64 v[7:8], 2, v[7:8]
	v_add_co_u32 v44, vcc_lo, v71, v44
	v_lshlrev_b64 v[52:53], 2, v[5:6]
	v_mad_u32_u24 v5, 0x672, v54, v11
	v_add_co_ci_u32_e32 v45, vcc_lo, v72, v45, vcc_lo
	v_lshlrev_b64 v[50:51], 2, v[37:38]
	v_add_co_u32 v0, vcc_lo, v71, v0
	v_add_co_ci_u32_e32 v1, vcc_lo, v72, v1, vcc_lo
	v_add_co_u32 v7, vcc_lo, v71, v7
	v_add_nc_u32_e32 v38, 0x14a, v5
	v_add_co_ci_u32_e32 v8, vcc_lo, v72, v8, vcc_lo
	v_lshlrev_b64 v[54:55], 2, v[5:6]
	v_add_co_u32 v50, vcc_lo, v71, v50
	v_add_nc_u32_e32 v40, 0x294, v5
	v_add_co_ci_u32_e32 v51, vcc_lo, v72, v51, vcc_lo
	v_add_co_u32 v52, vcc_lo, v71, v52
	v_lshlrev_b64 v[37:38], 2, v[38:39]
	v_add_nc_u32_e32 v42, 0x3de, v5
	v_add_co_ci_u32_e32 v53, vcc_lo, v72, v53, vcc_lo
	v_lshlrev_b64 v[39:40], 2, v[40:41]
	v_add_co_u32 v54, vcc_lo, v71, v54
	v_add_nc_u32_e32 v5, 0x528, v5
	v_add_co_ci_u32_e32 v55, vcc_lo, v72, v55, vcc_lo
	v_lshlrev_b64 v[41:42], 2, v[42:43]
	v_add_co_u32 v37, vcc_lo, v71, v37
	v_add_co_ci_u32_e32 v38, vcc_lo, v72, v38, vcc_lo
	v_lshlrev_b64 v[5:6], 2, v[5:6]
	v_add_co_u32 v39, vcc_lo, v71, v39
	v_add_co_ci_u32_e32 v40, vcc_lo, v72, v40, vcc_lo
	v_add_co_u32 v41, vcc_lo, v71, v41
	v_add_co_ci_u32_e32 v42, vcc_lo, v72, v42, vcc_lo
	;; [unrolled: 2-line block ×3, first 2 shown]
	s_waitcnt vmcnt(2)
	v_mul_f16_sdwa v2, v21, v25 dst_sel:DWORD dst_unused:UNUSED_PAD src0_sel:DWORD src1_sel:WORD_1
	v_mul_f16_sdwa v11, v24, v26 dst_sel:DWORD dst_unused:UNUSED_PAD src0_sel:DWORD src1_sel:WORD_1
	v_mul_f16_sdwa v43, v22, v28 dst_sel:DWORD dst_unused:UNUSED_PAD src0_sel:DWORD src1_sel:WORD_1
	v_mul_f16_sdwa v71, v23, v27 dst_sel:DWORD dst_unused:UNUSED_PAD src0_sel:DWORD src1_sel:WORD_1
	s_waitcnt lgkmcnt(14)
	v_mul_f16_sdwa v72, v56, v26 dst_sel:DWORD dst_unused:UNUSED_PAD src0_sel:DWORD src1_sel:WORD_1
	s_waitcnt lgkmcnt(10)
	v_mul_f16_sdwa v73, v60, v27 dst_sel:DWORD dst_unused:UNUSED_PAD src0_sel:DWORD src1_sel:WORD_1
	;; [unrolled: 2-line block ×3, first 2 shown]
	v_mul_f16_sdwa v75, v57, v28 dst_sel:DWORD dst_unused:UNUSED_PAD src0_sel:DWORD src1_sel:WORD_1
	v_fmac_f16_e32 v2, v65, v25
	v_fmac_f16_e32 v11, v56, v26
	;; [unrolled: 1-line block ×4, first 2 shown]
	v_fma_f16 v24, v24, v26, -v72
	v_fma_f16 v23, v23, v27, -v73
	;; [unrolled: 1-line block ×4, first 2 shown]
	s_waitcnt vmcnt(1)
	v_mul_f16_sdwa v25, v17, v29 dst_sel:DWORD dst_unused:UNUSED_PAD src0_sel:DWORD src1_sel:WORD_1
	v_mul_f16_sdwa v26, v18, v30 dst_sel:DWORD dst_unused:UNUSED_PAD src0_sel:DWORD src1_sel:WORD_1
	;; [unrolled: 1-line block ×5, first 2 shown]
	s_waitcnt lgkmcnt(4)
	v_mul_f16_sdwa v60, v66, v29 dst_sel:DWORD dst_unused:UNUSED_PAD src0_sel:DWORD src1_sel:WORD_1
	v_mul_f16_sdwa v65, v58, v32 dst_sel:DWORD dst_unused:UNUSED_PAD src0_sel:DWORD src1_sel:WORD_1
	;; [unrolled: 1-line block ×3, first 2 shown]
	v_sub_f16_e32 v72, v2, v11
	v_sub_f16_e32 v73, v43, v71
	;; [unrolled: 1-line block ×3, first 2 shown]
	v_add_f16_e32 v76, v11, v71
	v_sub_f16_e32 v77, v21, v24
	v_sub_f16_e32 v78, v22, v23
	v_add_f16_e32 v79, v24, v23
	v_sub_f16_e32 v80, v2, v43
	v_sub_f16_e32 v82, v11, v2
	;; [unrolled: 3-line block ×3, first 2 shown]
	v_add_f16_e32 v87, v21, v22
	s_waitcnt lgkmcnt(2)
	v_add_f16_e32 v2, v2, v68
	v_add_f16_e32 v21, v16, v21
	v_fmac_f16_e32 v25, v66, v29
	v_fmac_f16_e32 v26, v63, v30
	;; [unrolled: 1-line block ×3, first 2 shown]
	v_fma_f16 v18, v18, v30, -v56
	v_fma_f16 v19, v19, v31, -v57
	;; [unrolled: 1-line block ×4, first 2 shown]
	s_waitcnt vmcnt(0)
	v_mul_f16_sdwa v30, v12, v34 dst_sel:DWORD dst_unused:UNUSED_PAD src0_sel:DWORD src1_sel:WORD_1
	v_mul_f16_sdwa v32, v15, v35 dst_sel:DWORD dst_unused:UNUSED_PAD src0_sel:DWORD src1_sel:WORD_1
	;; [unrolled: 1-line block ×4, first 2 shown]
	v_fmac_f16_e32 v28, v61, v31
	v_mul_f16_sdwa v29, v13, v33 dst_sel:DWORD dst_unused:UNUSED_PAD src0_sel:DWORD src1_sel:WORD_1
	v_mul_f16_sdwa v31, v14, v36 dst_sel:DWORD dst_unused:UNUSED_PAD src0_sel:DWORD src1_sel:WORD_1
	;; [unrolled: 1-line block ×4, first 2 shown]
	v_sub_f16_e32 v83, v71, v43
	v_sub_f16_e32 v81, v11, v71
	v_add_f16_e32 v61, v72, v73
	v_fma_f16 v63, -0.5, v76, v68
	v_add_f16_e32 v65, v77, v78
	v_fma_f16 v66, -0.5, v79, v16
	v_fma_f16 v68, -0.5, v84, v68
	v_add_f16_e32 v73, v85, v86
	v_add_f16_e32 v2, v11, v2
	;; [unrolled: 1-line block ×3, first 2 shown]
	v_sub_f16_e32 v21, v25, v26
	v_sub_f16_e32 v77, v17, v20
	;; [unrolled: 1-line block ×5, first 2 shown]
	v_add_f16_e32 v88, v25, v27
	v_sub_f16_e32 v89, v18, v17
	v_add_f16_e32 v91, v17, v20
	s_waitcnt lgkmcnt(1)
	v_add_f16_e32 v25, v25, v69
	v_add_f16_e32 v17, v10, v17
	v_fmac_f16_e32 v30, v64, v34
	v_fmac_f16_e32 v32, v62, v35
	v_fma_f16 v12, v12, v34, -v56
	v_fma_f16 v15, v15, v35, -v57
	v_fma_f16 v16, -0.5, v87, v16
	v_add_f16_e32 v78, v26, v28
	v_sub_f16_e32 v87, v28, v27
	v_sub_f16_e32 v90, v19, v20
	v_fmac_f16_e32 v29, v67, v33
	v_fmac_f16_e32 v31, v59, v36
	v_fma_f16 v13, v13, v33, -v58
	v_fma_f16 v14, v14, v36, -v60
	v_sub_f16_e32 v74, v24, v23
	v_add_f16_e32 v72, v82, v83
	v_sub_f16_e32 v24, v27, v28
	v_sub_f16_e32 v82, v20, v19
	v_add_f16_e32 v2, v71, v2
	v_add_f16_e32 v25, v26, v25
	;; [unrolled: 1-line block ×5, first 2 shown]
	v_sub_f16_e32 v76, v18, v19
	v_add_f16_e32 v83, v18, v19
	v_sub_f16_e32 v85, v26, v28
	v_add_f16_e32 v11, v11, v23
	v_fma_f16 v23, -0.5, v78, v69
	v_add_f16_e32 v57, v86, v87
	v_fma_f16 v58, -0.5, v88, v69
	v_add_f16_e32 v59, v89, v90
	v_sub_f16_e32 v18, v29, v30
	v_sub_f16_e32 v26, v31, v32
	;; [unrolled: 1-line block ×4, first 2 shown]
	v_add_f16_e32 v86, v29, v31
	v_add_f16_e32 v89, v13, v14
	;; [unrolled: 1-line block ×4, first 2 shown]
	v_sub_f16_e32 v62, v13, v14
	v_sub_f16_e32 v78, v29, v31
	;; [unrolled: 1-line block ×4, first 2 shown]
	s_waitcnt lgkmcnt(0)
	v_add_f16_e32 v29, v29, v70
	v_add_f16_e32 v13, v9, v13
	;; [unrolled: 1-line block ×4, first 2 shown]
	v_fma_f16 v19, -0.5, v64, v70
	v_fma_f16 v28, -0.5, v71, v9
	v_sub_f16_e32 v60, v12, v15
	v_sub_f16_e32 v79, v30, v32
	v_add_f16_e32 v18, v18, v26
	v_add_f16_e32 v26, v67, v69
	v_fma_f16 v67, -0.5, v86, v70
	v_fma_f16 v9, -0.5, v89, v9
	;; [unrolled: 1-line block ×3, first 2 shown]
	v_fmamk_f16 v33, v75, 0x3b9c, v63
	v_fmamk_f16 v35, v74, 0xbb9c, v68
	v_fmac_f16_e32 v68, 0x3b9c, v74
	v_fmac_f16_e32 v63, 0xbb9c, v75
	v_fma_f16 v10, -0.5, v91, v10
	v_add_f16_e32 v29, v30, v29
	v_add_f16_e32 v12, v13, v12
	v_add_f16_e32 v13, v27, v25
	v_add_f16_e32 v17, v20, v17
	v_fmamk_f16 v20, v62, 0x3b9c, v19
	v_fmamk_f16 v25, v78, 0xbb9c, v28
	v_fmac_f16_e32 v19, 0xbb9c, v62
	v_fmac_f16_e32 v28, 0x3b9c, v78
	v_sub_f16_e32 v83, v32, v31
	v_sub_f16_e32 v88, v15, v14
	v_fmamk_f16 v27, v60, 0xbb9c, v67
	v_fmamk_f16 v30, v79, 0x3b9c, v9
	v_fmac_f16_e32 v67, 0x3b9c, v60
	v_fmac_f16_e32 v9, 0xbb9c, v79
	v_add_f16_e32 v2, v43, v2
	v_add_f16_e32 v11, v22, v11
	v_fmamk_f16 v22, v77, 0x3b9c, v23
	v_fmamk_f16 v43, v84, 0xbb9c, v56
	;; [unrolled: 1-line block ×4, first 2 shown]
	v_fmac_f16_e32 v16, 0xbb9c, v81
	v_fmac_f16_e32 v66, 0x3b9c, v80
	v_fmac_f16_e32 v33, 0x38b4, v74
	v_fmac_f16_e32 v35, 0x38b4, v75
	v_fmac_f16_e32 v68, 0xb8b4, v75
	v_fmac_f16_e32 v63, 0xb8b4, v74
	v_fmamk_f16 v74, v76, 0xbb9c, v58
	v_fmamk_f16 v75, v85, 0x3b9c, v10
	v_fmac_f16_e32 v58, 0x3b9c, v76
	v_fmac_f16_e32 v10, 0xbb9c, v85
	;; [unrolled: 1-line block ×4, first 2 shown]
	v_add_f16_e32 v29, v32, v29
	v_add_f16_e32 v12, v12, v15
	v_fmac_f16_e32 v19, 0xb8b4, v60
	v_fmac_f16_e32 v28, 0x38b4, v79
	v_add_f16_e32 v64, v82, v83
	v_add_f16_e32 v69, v87, v88
	v_fmac_f16_e32 v67, 0xb8b4, v62
	v_fmac_f16_e32 v9, 0x38b4, v78
	;; [unrolled: 1-line block ×18, first 2 shown]
	v_pack_b32_f16 v2, v11, v2
	v_add_f16_e32 v11, v31, v29
	v_add_f16_e32 v12, v14, v12
	v_fmac_f16_e32 v19, 0x34f2, v18
	v_fmac_f16_e32 v28, 0x34f2, v26
	;; [unrolled: 1-line block ×24, first 2 shown]
	v_pack_b32_f16 v11, v12, v11
	v_pack_b32_f16 v19, v28, v19
	;; [unrolled: 1-line block ×14, first 2 shown]
	global_store_dword v[3:4], v11, off
	global_store_dword v[3:4], v19, off offset:1320
	global_store_dword v[46:47], v9, off offset:592
	;; [unrolled: 1-line block ×4, first 2 shown]
	global_store_dword v[44:45], v13, off
	global_store_dword v[0:1], v12, off
	;; [unrolled: 1-line block ×10, first 2 shown]
.LBB0_29:
	s_endpgm
	.section	.rodata,"a",@progbits
	.p2align	6, 0x0
	.amdhsa_kernel fft_rtc_fwd_len1650_factors_11_2_3_5_5_wgs_110_tpt_110_halfLds_half_op_CI_CI_unitstride_sbrr_dirReg
		.amdhsa_group_segment_fixed_size 0
		.amdhsa_private_segment_fixed_size 0
		.amdhsa_kernarg_size 104
		.amdhsa_user_sgpr_count 6
		.amdhsa_user_sgpr_private_segment_buffer 1
		.amdhsa_user_sgpr_dispatch_ptr 0
		.amdhsa_user_sgpr_queue_ptr 0
		.amdhsa_user_sgpr_kernarg_segment_ptr 1
		.amdhsa_user_sgpr_dispatch_id 0
		.amdhsa_user_sgpr_flat_scratch_init 0
		.amdhsa_user_sgpr_private_segment_size 0
		.amdhsa_wavefront_size32 1
		.amdhsa_uses_dynamic_stack 0
		.amdhsa_system_sgpr_private_segment_wavefront_offset 0
		.amdhsa_system_sgpr_workgroup_id_x 1
		.amdhsa_system_sgpr_workgroup_id_y 0
		.amdhsa_system_sgpr_workgroup_id_z 0
		.amdhsa_system_sgpr_workgroup_info 0
		.amdhsa_system_vgpr_workitem_id 0
		.amdhsa_next_free_vgpr 92
		.amdhsa_next_free_sgpr 27
		.amdhsa_reserve_vcc 1
		.amdhsa_reserve_flat_scratch 0
		.amdhsa_float_round_mode_32 0
		.amdhsa_float_round_mode_16_64 0
		.amdhsa_float_denorm_mode_32 3
		.amdhsa_float_denorm_mode_16_64 3
		.amdhsa_dx10_clamp 1
		.amdhsa_ieee_mode 1
		.amdhsa_fp16_overflow 0
		.amdhsa_workgroup_processor_mode 1
		.amdhsa_memory_ordered 1
		.amdhsa_forward_progress 0
		.amdhsa_shared_vgpr_count 0
		.amdhsa_exception_fp_ieee_invalid_op 0
		.amdhsa_exception_fp_denorm_src 0
		.amdhsa_exception_fp_ieee_div_zero 0
		.amdhsa_exception_fp_ieee_overflow 0
		.amdhsa_exception_fp_ieee_underflow 0
		.amdhsa_exception_fp_ieee_inexact 0
		.amdhsa_exception_int_div_zero 0
	.end_amdhsa_kernel
	.text
.Lfunc_end0:
	.size	fft_rtc_fwd_len1650_factors_11_2_3_5_5_wgs_110_tpt_110_halfLds_half_op_CI_CI_unitstride_sbrr_dirReg, .Lfunc_end0-fft_rtc_fwd_len1650_factors_11_2_3_5_5_wgs_110_tpt_110_halfLds_half_op_CI_CI_unitstride_sbrr_dirReg
                                        ; -- End function
	.section	.AMDGPU.csdata,"",@progbits
; Kernel info:
; codeLenInByte = 14508
; NumSgprs: 29
; NumVgprs: 92
; ScratchSize: 0
; MemoryBound: 0
; FloatMode: 240
; IeeeMode: 1
; LDSByteSize: 0 bytes/workgroup (compile time only)
; SGPRBlocks: 3
; VGPRBlocks: 11
; NumSGPRsForWavesPerEU: 29
; NumVGPRsForWavesPerEU: 92
; Occupancy: 10
; WaveLimiterHint : 1
; COMPUTE_PGM_RSRC2:SCRATCH_EN: 0
; COMPUTE_PGM_RSRC2:USER_SGPR: 6
; COMPUTE_PGM_RSRC2:TRAP_HANDLER: 0
; COMPUTE_PGM_RSRC2:TGID_X_EN: 1
; COMPUTE_PGM_RSRC2:TGID_Y_EN: 0
; COMPUTE_PGM_RSRC2:TGID_Z_EN: 0
; COMPUTE_PGM_RSRC2:TIDIG_COMP_CNT: 0
	.text
	.p2alignl 6, 3214868480
	.fill 48, 4, 3214868480
	.type	__hip_cuid_a0908a6b39766636,@object ; @__hip_cuid_a0908a6b39766636
	.section	.bss,"aw",@nobits
	.globl	__hip_cuid_a0908a6b39766636
__hip_cuid_a0908a6b39766636:
	.byte	0                               ; 0x0
	.size	__hip_cuid_a0908a6b39766636, 1

	.ident	"AMD clang version 19.0.0git (https://github.com/RadeonOpenCompute/llvm-project roc-6.4.0 25133 c7fe45cf4b819c5991fe208aaa96edf142730f1d)"
	.section	".note.GNU-stack","",@progbits
	.addrsig
	.addrsig_sym __hip_cuid_a0908a6b39766636
	.amdgpu_metadata
---
amdhsa.kernels:
  - .args:
      - .actual_access:  read_only
        .address_space:  global
        .offset:         0
        .size:           8
        .value_kind:     global_buffer
      - .offset:         8
        .size:           8
        .value_kind:     by_value
      - .actual_access:  read_only
        .address_space:  global
        .offset:         16
        .size:           8
        .value_kind:     global_buffer
      - .actual_access:  read_only
        .address_space:  global
        .offset:         24
        .size:           8
        .value_kind:     global_buffer
      - .actual_access:  read_only
        .address_space:  global
        .offset:         32
        .size:           8
        .value_kind:     global_buffer
      - .offset:         40
        .size:           8
        .value_kind:     by_value
      - .actual_access:  read_only
        .address_space:  global
        .offset:         48
        .size:           8
        .value_kind:     global_buffer
      - .actual_access:  read_only
        .address_space:  global
        .offset:         56
        .size:           8
        .value_kind:     global_buffer
      - .offset:         64
        .size:           4
        .value_kind:     by_value
      - .actual_access:  read_only
        .address_space:  global
        .offset:         72
        .size:           8
        .value_kind:     global_buffer
      - .actual_access:  read_only
        .address_space:  global
        .offset:         80
        .size:           8
        .value_kind:     global_buffer
      - .actual_access:  read_only
        .address_space:  global
        .offset:         88
        .size:           8
        .value_kind:     global_buffer
      - .actual_access:  write_only
        .address_space:  global
        .offset:         96
        .size:           8
        .value_kind:     global_buffer
    .group_segment_fixed_size: 0
    .kernarg_segment_align: 8
    .kernarg_segment_size: 104
    .language:       OpenCL C
    .language_version:
      - 2
      - 0
    .max_flat_workgroup_size: 110
    .name:           fft_rtc_fwd_len1650_factors_11_2_3_5_5_wgs_110_tpt_110_halfLds_half_op_CI_CI_unitstride_sbrr_dirReg
    .private_segment_fixed_size: 0
    .sgpr_count:     29
    .sgpr_spill_count: 0
    .symbol:         fft_rtc_fwd_len1650_factors_11_2_3_5_5_wgs_110_tpt_110_halfLds_half_op_CI_CI_unitstride_sbrr_dirReg.kd
    .uniform_work_group_size: 1
    .uses_dynamic_stack: false
    .vgpr_count:     92
    .vgpr_spill_count: 0
    .wavefront_size: 32
    .workgroup_processor_mode: 1
amdhsa.target:   amdgcn-amd-amdhsa--gfx1030
amdhsa.version:
  - 1
  - 2
...

	.end_amdgpu_metadata
